;; amdgpu-corpus repo=ROCm/rocFFT kind=compiled arch=gfx906 opt=O3
	.text
	.amdgcn_target "amdgcn-amd-amdhsa--gfx906"
	.amdhsa_code_object_version 6
	.protected	bluestein_single_fwd_len72_dim1_half_op_CI_CI ; -- Begin function bluestein_single_fwd_len72_dim1_half_op_CI_CI
	.globl	bluestein_single_fwd_len72_dim1_half_op_CI_CI
	.p2align	8
	.type	bluestein_single_fwd_len72_dim1_half_op_CI_CI,@function
bluestein_single_fwd_len72_dim1_half_op_CI_CI: ; @bluestein_single_fwd_len72_dim1_half_op_CI_CI
; %bb.0:
	v_mul_u32_u24_e32 v1, 0x1c72, v0
	s_load_dwordx4 s[8:11], s[4:5], 0x28
	v_lshrrev_b32_e32 v3, 16, v1
	v_mad_u64_u32 v[1:2], s[0:1], s6, 7, v[3:4]
	v_mov_b32_e32 v2, 0
	s_waitcnt lgkmcnt(0)
	v_cmp_gt_u64_e32 vcc, s[8:9], v[1:2]
	s_and_saveexec_b64 s[0:1], vcc
	s_cbranch_execz .LBB0_18
; %bb.1:
	s_load_dwordx4 s[0:3], s[4:5], 0x18
	s_load_dwordx4 s[12:15], s[4:5], 0x0
	v_mul_lo_u16_e32 v2, 9, v3
	v_sub_u16_e32 v0, v0, v2
	v_lshlrev_b32_e32 v34, 2, v0
	s_waitcnt lgkmcnt(0)
	s_load_dwordx4 s[16:19], s[0:1], 0x0
	global_load_dword v32, v34, s[12:13]
	s_waitcnt lgkmcnt(0)
	v_mad_u64_u32 v[2:3], s[0:1], s18, v1, 0
	v_mad_u64_u32 v[4:5], s[0:1], s16, v0, 0
	;; [unrolled: 1-line block ×4, first 2 shown]
	v_mov_b32_e32 v3, v6
	v_lshlrev_b64 v[2:3], 2, v[2:3]
	v_mov_b32_e32 v8, s11
	v_mov_b32_e32 v5, v7
	v_add_co_u32_e32 v6, vcc, s10, v2
	v_addc_co_u32_e32 v7, vcc, v8, v3, vcc
	v_lshlrev_b64 v[2:3], 2, v[4:5]
	s_mul_i32 s0, s17, 36
	v_add_co_u32_e32 v2, vcc, v6, v2
	s_mul_hi_u32 s1, s16, 36
	v_addc_co_u32_e32 v3, vcc, v7, v3, vcc
	s_add_i32 s0, s1, s0
	s_mul_i32 s1, s16, 36
	global_load_dword v4, v[2:3], off
	v_mov_b32_e32 v5, s0
	v_add_co_u32_e32 v2, vcc, s1, v2
	v_addc_co_u32_e32 v3, vcc, v3, v5, vcc
	global_load_dword v5, v[2:3], off
	global_load_dword v31, v34, s[12:13] offset:36
	v_mov_b32_e32 v6, s0
	v_add_co_u32_e32 v2, vcc, s1, v2
	v_addc_co_u32_e32 v3, vcc, v3, v6, vcc
	global_load_dword v6, v[2:3], off
	global_load_dword v30, v34, s[12:13] offset:72
	;; [unrolled: 5-line block ×7, first 2 shown]
	s_mov_b32 s0, 0x24924925
	v_mul_hi_u32 v2, v1, s0
	s_load_dwordx4 s[8:11], s[2:3], 0x0
	s_movk_i32 s1, 0x39a8
	s_mov_b32 s0, 0xb9a8
	v_sub_u32_e32 v3, v1, v2
	v_lshrrev_b32_e32 v3, 1, v3
	v_add_u32_e32 v2, v3, v2
	v_lshrrev_b32_e32 v2, 2, v2
	v_mul_lo_u32 v2, v2, 7
	s_load_dwordx2 s[2:3], s[4:5], 0x38
	v_cmp_gt_u16_e32 vcc, 6, v0
	v_sub_u32_e32 v2, v1, v2
	v_mul_u32_u24_e32 v2, 0x48, v2
	v_lshlrev_b32_e32 v33, 2, v2
	v_add_u32_e32 v28, v34, v33
	v_lshl_add_u32 v37, v0, 5, v33
	s_waitcnt vmcnt(14)
	v_lshrrev_b32_e32 v2, 16, v4
	v_mul_f16_sdwa v3, v32, v4 dst_sel:DWORD dst_unused:UNUSED_PAD src0_sel:WORD_1 src1_sel:DWORD
	v_mul_f16_sdwa v12, v32, v2 dst_sel:DWORD dst_unused:UNUSED_PAD src0_sel:WORD_1 src1_sel:DWORD
	v_fma_f16 v2, v32, v2, -v3
	v_fma_f16 v4, v32, v4, v12
	s_waitcnt vmcnt(13)
	v_lshrrev_b32_e32 v3, 16, v5
	s_waitcnt vmcnt(12)
	v_mul_f16_sdwa v13, v31, v5 dst_sel:DWORD dst_unused:UNUSED_PAD src0_sel:WORD_1 src1_sel:DWORD
	v_mul_f16_sdwa v12, v31, v3 dst_sel:DWORD dst_unused:UNUSED_PAD src0_sel:WORD_1 src1_sel:DWORD
	v_fma_f16 v3, v31, v3, -v13
	v_pack_b32_f16 v2, v4, v2
	v_fma_f16 v4, v31, v5, v12
	s_waitcnt vmcnt(11)
	v_lshrrev_b32_e32 v13, 16, v6
	v_pack_b32_f16 v3, v4, v3
	ds_write2_b32 v28, v2, v3 offset1:9
	s_waitcnt vmcnt(10)
	v_mul_f16_sdwa v2, v30, v13 dst_sel:DWORD dst_unused:UNUSED_PAD src0_sel:WORD_1 src1_sel:DWORD
	v_mul_f16_sdwa v3, v30, v6 dst_sel:DWORD dst_unused:UNUSED_PAD src0_sel:WORD_1 src1_sel:DWORD
	v_fma_f16 v2, v30, v6, v2
	v_fma_f16 v3, v30, v13, -v3
	v_pack_b32_f16 v2, v2, v3
	s_waitcnt vmcnt(9)
	v_lshrrev_b32_e32 v3, 16, v7
	s_waitcnt vmcnt(8)
	v_mul_f16_sdwa v4, v29, v3 dst_sel:DWORD dst_unused:UNUSED_PAD src0_sel:WORD_1 src1_sel:DWORD
	v_mul_f16_sdwa v5, v29, v7 dst_sel:DWORD dst_unused:UNUSED_PAD src0_sel:WORD_1 src1_sel:DWORD
	v_fma_f16 v4, v29, v7, v4
	v_fma_f16 v3, v29, v3, -v5
	v_pack_b32_f16 v3, v4, v3
	ds_write2_b32 v28, v2, v3 offset0:18 offset1:27
	s_waitcnt vmcnt(7)
	v_lshrrev_b32_e32 v2, 16, v8
	s_waitcnt vmcnt(6)
	v_mul_f16_sdwa v3, v27, v2 dst_sel:DWORD dst_unused:UNUSED_PAD src0_sel:WORD_1 src1_sel:DWORD
	v_mul_f16_sdwa v4, v27, v8 dst_sel:DWORD dst_unused:UNUSED_PAD src0_sel:WORD_1 src1_sel:DWORD
	v_fma_f16 v3, v27, v8, v3
	v_fma_f16 v2, v27, v2, -v4
	v_pack_b32_f16 v2, v3, v2
	s_waitcnt vmcnt(5)
	v_lshrrev_b32_e32 v3, 16, v9
	s_waitcnt vmcnt(4)
	v_mul_f16_sdwa v4, v26, v3 dst_sel:DWORD dst_unused:UNUSED_PAD src0_sel:WORD_1 src1_sel:DWORD
	v_mul_f16_sdwa v5, v26, v9 dst_sel:DWORD dst_unused:UNUSED_PAD src0_sel:WORD_1 src1_sel:DWORD
	v_fma_f16 v4, v26, v9, v4
	v_fma_f16 v3, v26, v3, -v5
	v_pack_b32_f16 v3, v4, v3
	ds_write2_b32 v28, v2, v3 offset0:36 offset1:45
	s_waitcnt vmcnt(3)
	v_lshrrev_b32_e32 v2, 16, v10
	s_waitcnt vmcnt(2)
	v_mul_f16_sdwa v3, v25, v2 dst_sel:DWORD dst_unused:UNUSED_PAD src0_sel:WORD_1 src1_sel:DWORD
	v_mul_f16_sdwa v4, v25, v10 dst_sel:DWORD dst_unused:UNUSED_PAD src0_sel:WORD_1 src1_sel:DWORD
	v_fma_f16 v3, v25, v10, v3
	v_fma_f16 v2, v25, v2, -v4
	v_pack_b32_f16 v2, v3, v2
	s_waitcnt vmcnt(1)
	v_lshrrev_b32_e32 v3, 16, v11
	s_waitcnt vmcnt(0)
	v_mul_f16_sdwa v4, v24, v3 dst_sel:DWORD dst_unused:UNUSED_PAD src0_sel:WORD_1 src1_sel:DWORD
	v_mul_f16_sdwa v5, v24, v11 dst_sel:DWORD dst_unused:UNUSED_PAD src0_sel:WORD_1 src1_sel:DWORD
	v_fma_f16 v4, v24, v11, v4
	v_fma_f16 v3, v24, v3, -v5
	v_pack_b32_f16 v3, v4, v3
	ds_write2_b32 v28, v2, v3 offset0:54 offset1:63
	s_waitcnt lgkmcnt(0)
	; wave barrier
	s_waitcnt lgkmcnt(0)
	ds_read2_b32 v[2:3], v28 offset1:9
	ds_read2_b32 v[4:5], v28 offset0:36 offset1:45
	ds_read2_b32 v[6:7], v28 offset0:18 offset1:27
	;; [unrolled: 1-line block ×3, first 2 shown]
	s_waitcnt lgkmcnt(0)
	; wave barrier
	s_waitcnt lgkmcnt(0)
	v_pk_add_f16 v10, v2, v4 neg_lo:[0,1] neg_hi:[0,1]
	v_pk_add_f16 v11, v3, v5 neg_lo:[0,1] neg_hi:[0,1]
	;; [unrolled: 1-line block ×4, first 2 shown]
	v_pk_fma_f16 v2, v2, 2.0, v10 op_sel_hi:[1,0,1] neg_lo:[0,0,1] neg_hi:[0,0,1]
	v_pk_fma_f16 v6, v6, 2.0, v4 op_sel_hi:[1,0,1] neg_lo:[0,0,1] neg_hi:[0,0,1]
	;; [unrolled: 1-line block ×4, first 2 shown]
	v_sub_f16_sdwa v12, v10, v4 dst_sel:DWORD dst_unused:UNUSED_PAD src0_sel:DWORD src1_sel:WORD_1
	v_lshrrev_b32_e32 v13, 16, v10
	v_sub_f16_sdwa v15, v11, v5 dst_sel:DWORD dst_unused:UNUSED_PAD src0_sel:DWORD src1_sel:WORD_1
	v_lshrrev_b32_e32 v18, 16, v11
	v_pk_add_f16 v6, v2, v6 neg_lo:[0,1] neg_hi:[0,1]
	v_add_f16_e32 v14, v13, v4
	v_pk_add_f16 v7, v3, v7 neg_lo:[0,1] neg_hi:[0,1]
	v_add_f16_e32 v19, v18, v5
	v_fma_f16 v4, v15, s1, v12
	v_fma_f16 v9, v19, s0, v4
	v_sub_f16_sdwa v8, v6, v7 dst_sel:DWORD dst_unused:UNUSED_PAD src0_sel:DWORD src1_sel:WORD_1
	v_lshrrev_b32_e32 v4, 16, v6
	v_add_f16_e32 v16, v4, v7
	v_fma_f16 v5, v19, s1, v14
	v_fma_f16 v20, v6, 2.0, -v8
	v_pk_fma_f16 v2, v2, 2.0, v6 op_sel_hi:[1,0,1] neg_lo:[0,0,1] neg_hi:[0,0,1]
	v_fma_f16 v6, v10, 2.0, -v12
	v_pk_fma_f16 v7, v3, 2.0, v7 op_sel_hi:[1,0,1] neg_lo:[0,0,1] neg_hi:[0,0,1]
	v_fma_f16 v3, v11, 2.0, -v15
	v_fma_f16 v17, v15, s1, v5
	v_fma_f16 v5, v12, 2.0, -v9
	v_fma_f16 v10, v13, 2.0, -v14
	;; [unrolled: 1-line block ×3, first 2 shown]
	v_fma_f16 v12, v3, s0, v6
	v_fma_f16 v21, v14, 2.0, -v17
	v_fma_f16 v14, v11, s0, v12
	v_fma_f16 v11, v11, s0, v10
	;; [unrolled: 1-line block ×3, first 2 shown]
	v_fma_f16 v4, v4, 2.0, -v16
	v_fma_f16 v3, v6, 2.0, -v14
	v_fma_f16 v6, v10, 2.0, -v11
	v_pk_add_f16 v10, v2, v7 neg_lo:[0,1] neg_hi:[0,1]
	v_pack_b32_f16 v5, v5, v21
	v_pack_b32_f16 v4, v20, v4
	;; [unrolled: 1-line block ×3, first 2 shown]
	v_pk_fma_f16 v2, v2, 2.0, v10 op_sel_hi:[1,0,1] neg_lo:[0,0,1] neg_hi:[0,0,1]
	v_pack_b32_f16 v13, v9, v17
	v_pack_b32_f16 v12, v8, v16
	;; [unrolled: 1-line block ×3, first 2 shown]
	ds_write_b128 v37, v[2:5]
	ds_write_b128 v37, v[10:13] offset:16
	s_waitcnt lgkmcnt(0)
	; wave barrier
	s_waitcnt lgkmcnt(0)
	ds_read2_b32 v[10:11], v28 offset1:9
	ds_read2_b32 v[12:13], v28 offset0:24 offset1:33
	ds_read2_b32 v[14:15], v28 offset0:48 offset1:57
                                        ; implicit-def: $vgpr18
                                        ; implicit-def: $vgpr19
	s_and_saveexec_b64 s[0:1], vcc
	s_cbranch_execz .LBB0_3
; %bb.2:
	ds_read2_b32 v[8:9], v28 offset0:18 offset1:42
	ds_read_b32 v18, v28 offset:264
	s_waitcnt lgkmcnt(1)
	v_lshrrev_b32_e32 v16, 16, v8
	v_lshrrev_b32_e32 v17, 16, v9
	s_waitcnt lgkmcnt(0)
	v_lshrrev_b32_e32 v19, 16, v18
.LBB0_3:
	s_or_b64 exec, exec, s[0:1]
	v_add_co_u32_e64 v42, s[0:1], 9, v0
	v_and_b32_e32 v20, 7, v0
	v_add_co_u32_e64 v36, s[0:1], 18, v0
	v_lshlrev_b32_e32 v2, 3, v20
	v_and_b32_e32 v21, 7, v42
	v_and_b32_e32 v22, 7, v36
	global_load_dwordx2 v[2:3], v2, s[14:15]
	v_lshlrev_b32_e32 v4, 3, v21
	global_load_dwordx2 v[4:5], v4, s[14:15]
	v_lshlrev_b32_e32 v6, 3, v22
	global_load_dwordx2 v[6:7], v6, s[14:15]
	s_waitcnt lgkmcnt(1)
	v_lshrrev_b32_e32 v23, 16, v12
	s_waitcnt lgkmcnt(0)
	v_lshrrev_b32_e32 v38, 16, v14
	v_lshrrev_b32_e32 v39, 16, v13
	;; [unrolled: 1-line block ×5, first 2 shown]
	v_addc_co_u32_e64 v35, s[0:1], 0, 0, s[0:1]
	s_movk_i32 s0, 0x3aee
	s_mov_b32 s1, 0xbaee
	s_waitcnt lgkmcnt(0)
	; wave barrier
	s_waitcnt vmcnt(2)
	v_mul_f16_sdwa v44, v23, v2 dst_sel:DWORD dst_unused:UNUSED_PAD src0_sel:DWORD src1_sel:WORD_1
	v_mul_f16_sdwa v45, v12, v2 dst_sel:DWORD dst_unused:UNUSED_PAD src0_sel:DWORD src1_sel:WORD_1
	;; [unrolled: 1-line block ×4, first 2 shown]
	v_fma_f16 v12, v12, v2, -v44
	v_fma_f16 v23, v23, v2, v45
	s_waitcnt vmcnt(1)
	v_mul_f16_sdwa v44, v39, v4 dst_sel:DWORD dst_unused:UNUSED_PAD src0_sel:DWORD src1_sel:WORD_1
	v_mul_f16_sdwa v45, v13, v4 dst_sel:DWORD dst_unused:UNUSED_PAD src0_sel:DWORD src1_sel:WORD_1
	v_fma_f16 v38, v38, v3, v46
	v_fma_f16 v14, v14, v3, -v47
	v_mul_f16_sdwa v46, v40, v5 dst_sel:DWORD dst_unused:UNUSED_PAD src0_sel:DWORD src1_sel:WORD_1
	v_mul_f16_sdwa v47, v15, v5 dst_sel:DWORD dst_unused:UNUSED_PAD src0_sel:DWORD src1_sel:WORD_1
	s_waitcnt vmcnt(0)
	v_mul_f16_sdwa v48, v19, v7 dst_sel:DWORD dst_unused:UNUSED_PAD src0_sel:DWORD src1_sel:WORD_1
	v_mul_f16_sdwa v51, v17, v6 dst_sel:DWORD dst_unused:UNUSED_PAD src0_sel:DWORD src1_sel:WORD_1
	;; [unrolled: 1-line block ×4, first 2 shown]
	v_fma_f16 v13, v13, v4, -v44
	v_fma_f16 v15, v15, v5, -v46
	v_fma_f16 v39, v39, v4, v45
	v_fma_f16 v40, v40, v5, v47
	v_fma_f16 v18, v18, v7, -v48
	v_add_f16_e32 v44, v10, v12
	v_sub_f16_e32 v46, v23, v38
	v_add_f16_e32 v47, v41, v23
	v_add_f16_e32 v23, v23, v38
	v_fma_f16 v9, v9, v6, -v51
	v_fma_f16 v19, v19, v7, v49
	v_add_f16_e32 v45, v12, v14
	v_sub_f16_e32 v12, v12, v14
	v_fma_f16 v17, v17, v6, v50
	v_add_f16_e32 v48, v44, v14
	v_add_f16_e32 v38, v47, v38
	v_fma_f16 v14, v23, -0.5, v41
	v_add_f16_e32 v41, v11, v13
	v_add_f16_e32 v44, v9, v18
	v_sub_f16_e32 v47, v39, v40
	v_add_f16_e32 v49, v43, v39
	v_add_f16_e32 v39, v39, v40
	v_fma_f16 v10, v45, -0.5, v10
	v_add_f16_e32 v23, v13, v15
	v_add_f16_e32 v45, v8, v9
	v_sub_f16_e32 v13, v13, v15
	v_sub_f16_e32 v50, v17, v19
	v_fma_f16 v8, v44, -0.5, v8
	v_add_f16_e32 v52, v41, v15
	v_fma_f16 v15, v39, -0.5, v43
	v_add_f16_e32 v51, v16, v17
	v_add_f16_e32 v17, v17, v19
	v_sub_f16_e32 v9, v9, v18
	v_fma_f16 v11, v23, -0.5, v11
	v_fma_f16 v23, v46, s0, v10
	v_fma_f16 v10, v46, s1, v10
	;; [unrolled: 1-line block ×4, first 2 shown]
	v_add_f16_e32 v14, v45, v18
	v_fma_f16 v18, v13, s1, v15
	v_fma_f16 v13, v13, s0, v15
	;; [unrolled: 1-line block ×4, first 2 shown]
	v_lshrrev_b32_e32 v8, 3, v0
	v_fma_f16 v16, v17, -0.5, v16
	v_mul_u32_u24_e32 v8, 24, v8
	v_fma_f16 v44, v9, s1, v16
	v_fma_f16 v45, v9, s0, v16
	v_or_b32_e32 v16, v8, v20
	v_lshl_add_u32 v39, v16, 2, v33
	v_pack_b32_f16 v10, v10, v12
	ds_write_b32 v39, v10 offset:64
	v_lshrrev_b32_e32 v10, 3, v42
	v_mul_u32_u24_e32 v10, 24, v10
	v_add_f16_e32 v49, v49, v40
	v_fma_f16 v17, v47, s0, v11
	v_or_b32_e32 v10, v10, v21
	v_add_f16_e32 v41, v51, v19
	v_fma_f16 v11, v47, s1, v11
	v_pack_b32_f16 v19, v48, v38
	v_pack_b32_f16 v20, v23, v46
	v_lshl_add_u32 v40, v10, 2, v33
	v_pack_b32_f16 v10, v52, v49
	v_pack_b32_f16 v12, v17, v18
	v_mov_b32_e32 v9, s13
	v_lshlrev_b32_e32 v8, 3, v0
	ds_write2_b32 v39, v19, v20 offset1:8
	ds_write2_b32 v40, v10, v12 offset1:8
	v_pack_b32_f16 v10, v11, v13
	v_lshl_add_u32 v38, v22, 2, v33
	ds_write_b32 v40, v10 offset:64
	s_and_saveexec_b64 s[0:1], vcc
	s_cbranch_execz .LBB0_5
; %bb.4:
	v_mov_b32_e32 v11, 0xe0
	s_mov_b32 s4, 0x5040100
	v_lshl_or_b32 v11, v36, 2, v11
	v_add_u32_e32 v11, v33, v11
	v_perm_b32 v12, v44, v15, s4
	v_perm_b32 v10, v41, v14, s4
	ds_write_b32 v11, v12
	v_perm_b32 v11, v45, v43, s4
	ds_write2_b32 v38, v10, v11 offset0:48 offset1:64
.LBB0_5:
	s_or_b64 exec, exec, s[0:1]
	s_waitcnt lgkmcnt(0)
	; wave barrier
	s_waitcnt lgkmcnt(0)
	ds_read2_b32 v[18:19], v28 offset1:9
	ds_read2_b32 v[20:21], v28 offset0:24 offset1:33
	ds_read2_b32 v[22:23], v28 offset0:48 offset1:57
	v_add_co_u32_e64 v16, s[0:1], s12, v34
	v_addc_co_u32_e64 v17, s[0:1], 0, v9, s[0:1]
	s_and_saveexec_b64 s[0:1], vcc
	s_cbranch_execz .LBB0_7
; %bb.6:
	ds_read2_b32 v[14:15], v28 offset0:18 offset1:42
	ds_read_b32 v43, v28 offset:264
	s_waitcnt lgkmcnt(1)
	v_lshrrev_b32_e32 v41, 16, v14
	v_lshrrev_b32_e32 v44, 16, v15
	s_waitcnt lgkmcnt(0)
	v_lshrrev_b32_e32 v45, 16, v43
.LBB0_7:
	s_or_b64 exec, exec, s[0:1]
	v_mov_b32_e32 v46, s15
	v_lshlrev_b32_e32 v9, 3, v42
	v_add_co_u32_e64 v8, s[0:1], s14, v8
	global_load_dwordx2 v[10:11], v9, s[14:15] offset:64
	v_addc_co_u32_e64 v9, s[0:1], 0, v46, s[0:1]
	global_load_dwordx2 v[12:13], v[8:9], off offset:64
	v_add_co_u32_e64 v8, s[0:1], -6, v0
	v_addc_co_u32_e64 v9, s[0:1], 0, -1, s[0:1]
	v_cndmask_b32_e32 v8, v8, v36, vcc
	v_cndmask_b32_e32 v9, v9, v35, vcc
	v_lshlrev_b64 v[8:9], 3, v[8:9]
	s_waitcnt lgkmcnt(0)
	v_lshrrev_b32_e32 v47, 16, v22
	v_add_co_u32_e64 v8, s[0:1], s14, v8
	v_addc_co_u32_e64 v9, s[0:1], v46, v9, s[0:1]
	global_load_dwordx2 v[8:9], v[8:9], off offset:64
	v_lshrrev_b32_e32 v46, 16, v20
	v_lshrrev_b32_e32 v49, 16, v21
	;; [unrolled: 1-line block ×5, first 2 shown]
	s_movk_i32 s0, 0x3aee
	s_mov_b32 s1, 0xbaee
	v_lshl_add_u32 v35, v0, 2, v33
	s_waitcnt vmcnt(2)
	v_mul_f16_sdwa v51, v49, v10 dst_sel:DWORD dst_unused:UNUSED_PAD src0_sel:DWORD src1_sel:WORD_1
	v_mul_f16_sdwa v52, v21, v10 dst_sel:DWORD dst_unused:UNUSED_PAD src0_sel:DWORD src1_sel:WORD_1
	;; [unrolled: 1-line block ×4, first 2 shown]
	s_waitcnt vmcnt(1)
	v_mul_f16_sdwa v55, v46, v12 dst_sel:DWORD dst_unused:UNUSED_PAD src0_sel:DWORD src1_sel:WORD_1
	v_mul_f16_sdwa v56, v20, v12 dst_sel:DWORD dst_unused:UNUSED_PAD src0_sel:DWORD src1_sel:WORD_1
	;; [unrolled: 1-line block ×4, first 2 shown]
	v_fma_f16 v21, v21, v10, -v51
	v_fma_f16 v49, v49, v10, v52
	v_fma_f16 v23, v23, v11, -v53
	v_fma_f16 v50, v50, v11, v54
	;; [unrolled: 2-line block ×4, first 2 shown]
	v_add_f16_e32 v51, v19, v21
	v_add_f16_e32 v52, v21, v23
	v_sub_f16_e32 v53, v49, v50
	v_add_f16_e32 v54, v48, v49
	v_add_f16_e32 v49, v49, v50
	;; [unrolled: 1-line block ×4, first 2 shown]
	v_sub_f16_e32 v57, v46, v47
	v_add_f16_e32 v58, v42, v46
	v_add_f16_e32 v46, v46, v47
	v_sub_f16_e32 v21, v21, v23
	v_sub_f16_e32 v20, v20, v22
	v_add_f16_e32 v51, v51, v23
	v_fma_f16 v19, v52, -0.5, v19
	v_fma_f16 v23, v49, -0.5, v48
	v_add_f16_e32 v22, v55, v22
	v_fma_f16 v18, v56, -0.5, v18
	v_add_f16_e32 v47, v58, v47
	v_fma_f16 v42, v46, -0.5, v42
	v_fma_f16 v46, v53, s0, v19
	v_fma_f16 v48, v53, s1, v19
	v_fma_f16 v49, v21, s1, v23
	v_fma_f16 v52, v21, s0, v23
	v_fma_f16 v19, v57, s0, v18
	v_fma_f16 v18, v57, s1, v18
	v_fma_f16 v21, v20, s1, v42
	v_fma_f16 v20, v20, s0, v42
	v_pack_b32_f16 v47, v22, v47
	s_waitcnt vmcnt(0)
	v_mul_f16_sdwa v22, v44, v8 dst_sel:DWORD dst_unused:UNUSED_PAD src0_sel:DWORD src1_sel:WORD_1
	v_mul_f16_sdwa v23, v15, v8 dst_sel:DWORD dst_unused:UNUSED_PAD src0_sel:DWORD src1_sel:WORD_1
	;; [unrolled: 1-line block ×4, first 2 shown]
	v_add_f16_e32 v50, v54, v50
	v_pack_b32_f16 v54, v19, v21
	v_pack_b32_f16 v55, v18, v20
	v_fma_f16 v18, v15, v8, -v22
	v_fma_f16 v20, v44, v8, v23
	v_fma_f16 v19, v43, v9, -v42
	v_fma_f16 v21, v45, v9, v53
	v_add_f16_e32 v15, v18, v19
	v_add_f16_e32 v22, v20, v21
	v_sub_f16_e32 v42, v20, v21
	v_sub_f16_e32 v43, v18, v19
	v_fma_f16 v23, v15, -0.5, v14
	v_fma_f16 v44, v22, -0.5, v41
	v_pack_b32_f16 v45, v51, v50
	v_fma_f16 v15, v42, s1, v23
	v_fma_f16 v22, v43, s0, v44
	ds_write2_b32 v35, v54, v55 offset0:24 offset1:48
	ds_write2_b32 v28, v47, v45 offset1:9
	v_pack_b32_f16 v45, v46, v49
	v_pack_b32_f16 v46, v48, v52
	ds_write2_b32 v28, v45, v46 offset0:33 offset1:57
	s_and_saveexec_b64 s[0:1], vcc
	s_cbranch_execz .LBB0_9
; %bb.8:
	v_add_f16_e32 v20, v41, v20
	v_add_f16_e32 v14, v14, v18
	v_mul_f16_e32 v42, 0x3aee, v42
	v_mul_f16_e32 v43, 0x3aee, v43
	v_add_f16_e32 v20, v20, v21
	v_add_f16_e32 v14, v14, v19
	v_sub_f16_e32 v43, v44, v43
	v_add_f16_e32 v23, v42, v23
	v_pack_b32_f16 v14, v14, v20
	s_mov_b32 s4, 0x5040100
	ds_write_b32 v28, v14 offset:72
	v_pack_b32_f16 v14, v23, v43
	v_perm_b32 v18, v22, v15, s4
	ds_write2_b32 v35, v14, v18 offset0:42 offset1:66
.LBB0_9:
	s_or_b64 exec, exec, s[0:1]
	s_waitcnt lgkmcnt(0)
	; wave barrier
	s_waitcnt lgkmcnt(0)
	global_load_dword v16, v[16:17], off offset:288
	ds_read2_b32 v[18:19], v28 offset1:9
	s_add_u32 s0, s12, 0x120
	s_addc_u32 s1, s13, 0
	s_waitcnt lgkmcnt(0)
	v_lshrrev_b32_e32 v14, 16, v18
	s_waitcnt vmcnt(0)
	v_mul_f16_sdwa v17, v14, v16 dst_sel:DWORD dst_unused:UNUSED_PAD src0_sel:DWORD src1_sel:WORD_1
	v_fma_f16 v17, v18, v16, -v17
	v_mul_f16_sdwa v18, v18, v16 dst_sel:DWORD dst_unused:UNUSED_PAD src0_sel:DWORD src1_sel:WORD_1
	v_fma_f16 v14, v14, v16, v18
	v_pack_b32_f16 v14, v17, v14
	global_load_dword v17, v34, s[0:1] offset:36
	v_lshrrev_b32_e32 v16, 16, v19
	s_waitcnt vmcnt(0)
	v_mul_f16_sdwa v18, v16, v17 dst_sel:DWORD dst_unused:UNUSED_PAD src0_sel:DWORD src1_sel:WORD_1
	v_fma_f16 v18, v19, v17, -v18
	v_mul_f16_sdwa v19, v19, v17 dst_sel:DWORD dst_unused:UNUSED_PAD src0_sel:DWORD src1_sel:WORD_1
	v_fma_f16 v16, v16, v17, v19
	global_load_dword v17, v34, s[0:1] offset:72
	v_pack_b32_f16 v16, v18, v16
	ds_write2_b32 v28, v14, v16 offset1:9
	ds_read_b32 v14, v35 offset:72
	s_waitcnt lgkmcnt(0)
	v_lshrrev_b32_e32 v16, 16, v14
	s_waitcnt vmcnt(0)
	v_mul_f16_sdwa v18, v16, v17 dst_sel:DWORD dst_unused:UNUSED_PAD src0_sel:DWORD src1_sel:WORD_1
	v_fma_f16 v18, v14, v17, -v18
	v_mul_f16_sdwa v14, v14, v17 dst_sel:DWORD dst_unused:UNUSED_PAD src0_sel:DWORD src1_sel:WORD_1
	v_fma_f16 v14, v16, v17, v14
	v_pack_b32_f16 v14, v18, v14
	global_load_dword v18, v34, s[0:1] offset:108
	ds_read2_b32 v[16:17], v28 offset0:27 offset1:36
	ds_write_b32 v35, v14 offset:72
	s_waitcnt lgkmcnt(1)
	v_lshrrev_b32_e32 v14, 16, v16
	s_waitcnt vmcnt(0)
	v_mul_f16_sdwa v19, v14, v18 dst_sel:DWORD dst_unused:UNUSED_PAD src0_sel:DWORD src1_sel:WORD_1
	v_fma_f16 v19, v16, v18, -v19
	v_mul_f16_sdwa v16, v16, v18 dst_sel:DWORD dst_unused:UNUSED_PAD src0_sel:DWORD src1_sel:WORD_1
	v_fma_f16 v14, v14, v18, v16
	global_load_dword v18, v34, s[0:1] offset:144
	v_lshrrev_b32_e32 v16, 16, v17
	v_pack_b32_f16 v14, v19, v14
	s_waitcnt vmcnt(0)
	v_mul_f16_sdwa v19, v16, v18 dst_sel:DWORD dst_unused:UNUSED_PAD src0_sel:DWORD src1_sel:WORD_1
	v_fma_f16 v19, v17, v18, -v19
	v_mul_f16_sdwa v17, v17, v18 dst_sel:DWORD dst_unused:UNUSED_PAD src0_sel:DWORD src1_sel:WORD_1
	v_fma_f16 v16, v16, v18, v17
	global_load_dword v18, v34, s[0:1] offset:180
	v_pack_b32_f16 v16, v19, v16
	ds_write2_b32 v28, v14, v16 offset0:27 offset1:36
	ds_read2_b32 v[16:17], v28 offset0:45 offset1:54
	s_waitcnt lgkmcnt(0)
	v_lshrrev_b32_e32 v14, 16, v16
	s_waitcnt vmcnt(0)
	v_mul_f16_sdwa v19, v14, v18 dst_sel:DWORD dst_unused:UNUSED_PAD src0_sel:DWORD src1_sel:WORD_1
	v_fma_f16 v19, v16, v18, -v19
	v_mul_f16_sdwa v16, v16, v18 dst_sel:DWORD dst_unused:UNUSED_PAD src0_sel:DWORD src1_sel:WORD_1
	v_fma_f16 v14, v14, v18, v16
	global_load_dword v18, v34, s[0:1] offset:216
	v_lshrrev_b32_e32 v16, 16, v17
	v_pack_b32_f16 v14, v19, v14
	s_waitcnt vmcnt(0)
	v_mul_f16_sdwa v19, v16, v18 dst_sel:DWORD dst_unused:UNUSED_PAD src0_sel:DWORD src1_sel:WORD_1
	v_fma_f16 v19, v17, v18, -v19
	v_mul_f16_sdwa v17, v17, v18 dst_sel:DWORD dst_unused:UNUSED_PAD src0_sel:DWORD src1_sel:WORD_1
	v_fma_f16 v16, v16, v18, v17
	global_load_dword v17, v34, s[0:1] offset:252
	v_pack_b32_f16 v16, v19, v16
	ds_write2_b32 v28, v14, v16 offset0:45 offset1:54
	ds_read_b32 v14, v28 offset:252
	s_mov_b32 s0, 0xb9a8
	s_movk_i32 s1, 0x39a8
	s_waitcnt lgkmcnt(0)
	v_lshrrev_b32_e32 v16, 16, v14
	s_waitcnt vmcnt(0)
	v_mul_f16_sdwa v18, v16, v17 dst_sel:DWORD dst_unused:UNUSED_PAD src0_sel:DWORD src1_sel:WORD_1
	v_fma_f16 v18, v14, v17, -v18
	v_mul_f16_sdwa v14, v14, v17 dst_sel:DWORD dst_unused:UNUSED_PAD src0_sel:DWORD src1_sel:WORD_1
	v_fma_f16 v14, v16, v17, v14
	v_pack_b32_f16 v14, v18, v14
	ds_write_b32 v28, v14 offset:252
	s_waitcnt lgkmcnt(0)
	; wave barrier
	s_waitcnt lgkmcnt(0)
	ds_read2_b32 v[16:17], v28 offset1:9
	ds_read_b32 v14, v35 offset:72
	ds_read2_b32 v[18:19], v28 offset0:27 offset1:36
	ds_read2_b32 v[20:21], v28 offset0:45 offset1:54
	ds_read_b32 v23, v28 offset:252
	s_waitcnt lgkmcnt(0)
	; wave barrier
	s_waitcnt lgkmcnt(0)
	v_pk_add_f16 v19, v16, v19 neg_lo:[0,1] neg_hi:[0,1]
	v_pk_add_f16 v21, v14, v21 neg_lo:[0,1] neg_hi:[0,1]
	v_pk_fma_f16 v16, v16, 2.0, v19 op_sel_hi:[1,0,1] neg_lo:[0,0,1] neg_hi:[0,0,1]
	v_pk_fma_f16 v14, v14, 2.0, v21 op_sel_hi:[1,0,1] neg_lo:[0,0,1] neg_hi:[0,0,1]
	v_pk_add_f16 v20, v17, v20 neg_lo:[0,1] neg_hi:[0,1]
	v_pk_add_f16 v23, v18, v23 neg_lo:[0,1] neg_hi:[0,1]
	;; [unrolled: 1-line block ×3, first 2 shown]
	v_pk_fma_f16 v17, v17, 2.0, v20 op_sel_hi:[1,0,1] neg_lo:[0,0,1] neg_hi:[0,0,1]
	v_pk_fma_f16 v18, v18, 2.0, v23 op_sel_hi:[1,0,1] neg_lo:[0,0,1] neg_hi:[0,0,1]
	;; [unrolled: 1-line block ×3, first 2 shown]
	v_lshrrev_b32_e32 v16, 16, v19
	v_add_f16_sdwa v42, v19, v21 dst_sel:DWORD dst_unused:UNUSED_PAD src0_sel:DWORD src1_sel:WORD_1
	v_sub_f16_e32 v21, v16, v21
	v_pk_add_f16 v18, v17, v18 neg_lo:[0,1] neg_hi:[0,1]
	v_fma_f16 v41, v16, 2.0, -v21
	v_pk_fma_f16 v16, v17, 2.0, v18 op_sel_hi:[1,0,1] neg_lo:[0,0,1] neg_hi:[0,0,1]
	v_add_f16_sdwa v43, v20, v23 dst_sel:DWORD dst_unused:UNUSED_PAD src0_sel:DWORD src1_sel:WORD_1
	v_lshrrev_b32_e32 v17, 16, v20
	v_fma_f16 v19, v19, 2.0, -v42
	v_sub_f16_e32 v44, v17, v23
	v_fma_f16 v20, v20, 2.0, -v43
	v_pk_add_f16 v16, v34, v16 neg_lo:[0,1] neg_hi:[0,1]
	v_fma_f16 v23, v17, 2.0, -v44
	v_pk_fma_f16 v17, v34, 2.0, v16 op_sel_hi:[1,0,1] neg_lo:[0,0,1] neg_hi:[0,0,1]
	v_fma_f16 v34, v20, s0, v19
	v_fma_f16 v46, v23, s1, v34
	;; [unrolled: 1-line block ×3, first 2 shown]
	v_fma_f16 v47, v19, 2.0, -v46
	v_add_f16_sdwa v23, v14, v18 dst_sel:DWORD dst_unused:UNUSED_PAD src0_sel:DWORD src1_sel:WORD_1
	v_lshrrev_b32_e32 v19, 16, v14
	v_fma_f16 v45, v20, s0, v45
	v_sub_f16_e32 v34, v19, v18
	v_fma_f16 v18, v14, 2.0, -v23
	v_fma_f16 v14, v43, s1, v42
	v_fma_f16 v20, v44, s1, v21
	v_fma_f16 v48, v41, 2.0, -v45
	v_fma_f16 v14, v44, s1, v14
	v_fma_f16 v41, v43, s0, v20
	v_fma_f16 v19, v19, 2.0, -v34
	v_fma_f16 v20, v42, 2.0, -v14
	;; [unrolled: 1-line block ×3, first 2 shown]
	v_pack_b32_f16 v19, v18, v19
	v_pack_b32_f16 v20, v20, v21
	;; [unrolled: 1-line block ×3, first 2 shown]
	ds_write_b128 v37, v[17:20]
	v_pack_b32_f16 v19, v14, v41
	v_pack_b32_f16 v18, v23, v34
	;; [unrolled: 1-line block ×3, first 2 shown]
	ds_write_b128 v37, v[16:19] offset:16
	s_waitcnt lgkmcnt(0)
	; wave barrier
	s_waitcnt lgkmcnt(0)
	ds_read2_b32 v[16:17], v28 offset1:9
	ds_read2_b32 v[20:21], v28 offset0:24 offset1:33
	ds_read2_b32 v[18:19], v28 offset0:48 offset1:57
	s_and_saveexec_b64 s[0:1], vcc
	s_cbranch_execz .LBB0_11
; %bb.10:
	ds_read_b32 v23, v35 offset:72
	ds_read2_b32 v[14:15], v28 offset0:42 offset1:66
	s_waitcnt lgkmcnt(1)
	v_lshrrev_b32_e32 v34, 16, v23
	s_waitcnt lgkmcnt(0)
	v_lshrrev_b32_e32 v41, 16, v14
	v_lshrrev_b32_e32 v22, 16, v15
.LBB0_11:
	s_or_b64 exec, exec, s[0:1]
	s_waitcnt lgkmcnt(1)
	v_lshrrev_b32_e32 v42, 16, v20
	v_mul_f16_sdwa v47, v2, v42 dst_sel:DWORD dst_unused:UNUSED_PAD src0_sel:WORD_1 src1_sel:DWORD
	s_waitcnt lgkmcnt(0)
	v_lshrrev_b32_e32 v43, 16, v18
	v_fma_f16 v47, v2, v20, v47
	v_mul_f16_sdwa v20, v2, v20 dst_sel:DWORD dst_unused:UNUSED_PAD src0_sel:WORD_1 src1_sel:DWORD
	v_fma_f16 v2, v2, v42, -v20
	v_mul_f16_sdwa v20, v3, v43 dst_sel:DWORD dst_unused:UNUSED_PAD src0_sel:WORD_1 src1_sel:DWORD
	v_lshrrev_b32_e32 v45, 16, v21
	v_fma_f16 v20, v3, v18, v20
	v_mul_f16_sdwa v18, v3, v18 dst_sel:DWORD dst_unused:UNUSED_PAD src0_sel:WORD_1 src1_sel:DWORD
	v_fma_f16 v3, v3, v43, -v18
	v_mul_f16_sdwa v18, v4, v45 dst_sel:DWORD dst_unused:UNUSED_PAD src0_sel:WORD_1 src1_sel:DWORD
	;; [unrolled: 5-line block ×3, first 2 shown]
	v_fma_f16 v21, v5, v19, v21
	v_mul_f16_sdwa v19, v5, v19 dst_sel:DWORD dst_unused:UNUSED_PAD src0_sel:WORD_1 src1_sel:DWORD
	v_fma_f16 v5, v5, v46, -v19
	v_mul_f16_sdwa v19, v6, v41 dst_sel:DWORD dst_unused:UNUSED_PAD src0_sel:WORD_1 src1_sel:DWORD
	v_fma_f16 v19, v6, v14, v19
	v_mul_f16_sdwa v14, v6, v14 dst_sel:DWORD dst_unused:UNUSED_PAD src0_sel:WORD_1 src1_sel:DWORD
	v_fma_f16 v6, v6, v41, -v14
	v_mul_f16_sdwa v14, v7, v22 dst_sel:DWORD dst_unused:UNUSED_PAD src0_sel:WORD_1 src1_sel:DWORD
	v_fma_f16 v14, v7, v15, v14
	v_mul_f16_sdwa v15, v7, v15 dst_sel:DWORD dst_unused:UNUSED_PAD src0_sel:WORD_1 src1_sel:DWORD
	v_fma_f16 v7, v7, v22, -v15
	v_add_f16_e32 v22, v47, v20
	v_lshrrev_b32_e32 v37, 16, v16
	v_add_f16_e32 v15, v16, v47
	v_fma_f16 v16, v22, -0.5, v16
	v_sub_f16_e32 v22, v2, v3
	s_mov_b32 s0, 0xbaee
	s_movk_i32 s1, 0x3aee
	v_fma_f16 v41, v22, s0, v16
	v_fma_f16 v22, v22, s1, v16
	v_add_f16_e32 v16, v37, v2
	v_add_f16_e32 v2, v2, v3
	v_add_f16_e32 v42, v16, v3
	v_fma_f16 v2, v2, -0.5, v37
	v_sub_f16_e32 v3, v47, v20
	v_add_f16_e32 v15, v15, v20
	v_fma_f16 v20, v3, s1, v2
	v_fma_f16 v37, v3, s0, v2
	v_add_f16_e32 v2, v17, v18
	v_add_f16_e32 v43, v2, v21
	;; [unrolled: 1-line block ×3, first 2 shown]
	v_lshrrev_b32_e32 v44, 16, v17
	v_fma_f16 v2, v2, -0.5, v17
	v_sub_f16_e32 v3, v4, v5
	v_fma_f16 v45, v3, s0, v2
	v_fma_f16 v46, v3, s1, v2
	v_add_f16_e32 v2, v44, v4
	v_add_f16_e32 v47, v2, v5
	v_add_f16_e32 v2, v4, v5
	v_fma_f16 v2, v2, -0.5, v44
	v_sub_f16_e32 v3, v18, v21
	v_fma_f16 v4, v3, s1, v2
	v_fma_f16 v5, v3, s0, v2
	v_add_f16_e32 v2, v23, v19
	v_add_f16_e32 v16, v14, v2
	v_add_f16_e32 v2, v14, v19
	;; [unrolled: 7-line block ×3, first 2 shown]
	v_fma_f16 v6, v6, -0.5, v34
	v_sub_f16_e32 v7, v19, v14
	v_fma_f16 v18, v7, s1, v6
	v_fma_f16 v19, v7, s0, v6
	v_pack_b32_f16 v6, v15, v42
	v_pack_b32_f16 v7, v41, v20
	s_waitcnt lgkmcnt(0)
	; wave barrier
	ds_write2_b32 v39, v6, v7 offset1:8
	v_pack_b32_f16 v6, v22, v37
	ds_write_b32 v39, v6 offset:64
	v_pack_b32_f16 v6, v43, v47
	v_pack_b32_f16 v4, v45, v4
	ds_write2_b32 v40, v6, v4 offset1:8
	v_pack_b32_f16 v4, v46, v5
	ds_write_b32 v40, v4 offset:64
	s_and_saveexec_b64 s[0:1], vcc
	s_cbranch_execz .LBB0_13
; %bb.12:
	v_mov_b32_e32 v5, 0xe0
	s_mov_b32 s4, 0x5040100
	v_lshl_or_b32 v5, v36, 2, v5
	v_add_u32_e32 v5, v33, v5
	v_perm_b32 v6, v18, v2, s4
	v_perm_b32 v4, v17, v16, s4
	ds_write_b32 v5, v6
	v_perm_b32 v5, v19, v3, s4
	ds_write2_b32 v38, v4, v5 offset0:48 offset1:64
.LBB0_13:
	s_or_b64 exec, exec, s[0:1]
	s_waitcnt lgkmcnt(0)
	; wave barrier
	s_waitcnt lgkmcnt(0)
	ds_read2_b32 v[4:5], v28 offset1:9
	ds_read2_b32 v[14:15], v28 offset0:24 offset1:33
	ds_read2_b32 v[6:7], v28 offset0:48 offset1:57
	v_add_u32_e32 v20, 36, v28
	s_and_saveexec_b64 s[0:1], vcc
	s_cbranch_execz .LBB0_15
; %bb.14:
	ds_read_b32 v16, v35 offset:72
	ds_read2_b32 v[2:3], v28 offset0:42 offset1:66
	s_waitcnt lgkmcnt(1)
	v_lshrrev_b32_e32 v17, 16, v16
	s_waitcnt lgkmcnt(0)
	v_lshrrev_b32_e32 v18, 16, v2
	v_lshrrev_b32_e32 v19, 16, v3
.LBB0_15:
	s_or_b64 exec, exec, s[0:1]
	s_waitcnt lgkmcnt(1)
	v_lshrrev_b32_e32 v22, 16, v14
	v_mul_f16_sdwa v37, v12, v22 dst_sel:DWORD dst_unused:UNUSED_PAD src0_sel:WORD_1 src1_sel:DWORD
	s_waitcnt lgkmcnt(0)
	v_lshrrev_b32_e32 v23, 16, v6
	v_fma_f16 v37, v12, v14, v37
	v_mul_f16_sdwa v14, v12, v14 dst_sel:DWORD dst_unused:UNUSED_PAD src0_sel:WORD_1 src1_sel:DWORD
	v_fma_f16 v12, v12, v22, -v14
	v_mul_f16_sdwa v14, v13, v23 dst_sel:DWORD dst_unused:UNUSED_PAD src0_sel:WORD_1 src1_sel:DWORD
	v_lshrrev_b32_e32 v34, 16, v15
	v_fma_f16 v14, v13, v6, v14
	v_mul_f16_sdwa v6, v13, v6 dst_sel:DWORD dst_unused:UNUSED_PAD src0_sel:WORD_1 src1_sel:DWORD
	v_fma_f16 v6, v13, v23, -v6
	v_mul_f16_sdwa v13, v10, v34 dst_sel:DWORD dst_unused:UNUSED_PAD src0_sel:WORD_1 src1_sel:DWORD
	;; [unrolled: 5-line block ×3, first 2 shown]
	v_fma_f16 v15, v11, v7, v15
	v_mul_f16_sdwa v7, v11, v7 dst_sel:DWORD dst_unused:UNUSED_PAD src0_sel:WORD_1 src1_sel:DWORD
	v_add_f16_e32 v22, v37, v14
	v_lshrrev_b32_e32 v21, 16, v4
	v_fma_f16 v7, v11, v36, -v7
	v_add_f16_e32 v11, v4, v37
	v_fma_f16 v4, v22, -0.5, v4
	v_sub_f16_e32 v22, v12, v6
	s_mov_b32 s4, 0xbaee
	s_movk_i32 s5, 0x3aee
	v_fma_f16 v23, v22, s4, v4
	v_fma_f16 v4, v22, s5, v4
	v_add_f16_e32 v22, v21, v12
	v_add_f16_e32 v22, v22, v6
	v_add_f16_e32 v6, v12, v6
	v_fma_f16 v6, v6, -0.5, v21
	v_sub_f16_e32 v12, v37, v14
	v_add_f16_e32 v21, v13, v15
	v_lshrrev_b32_e32 v33, 16, v5
	v_add_f16_e32 v11, v11, v14
	v_fma_f16 v14, v12, s5, v6
	v_fma_f16 v6, v12, s4, v6
	v_add_f16_e32 v12, v5, v13
	v_fma_f16 v5, v21, -0.5, v5
	v_sub_f16_e32 v21, v10, v7
	v_fma_f16 v34, v21, s4, v5
	v_fma_f16 v5, v21, s5, v5
	v_add_f16_e32 v21, v33, v10
	v_add_f16_e32 v21, v21, v7
	;; [unrolled: 1-line block ×3, first 2 shown]
	v_fma_f16 v7, v7, -0.5, v33
	v_sub_f16_e32 v10, v13, v15
	v_fma_f16 v13, v10, s5, v7
	v_fma_f16 v7, v10, s4, v7
	v_pack_b32_f16 v10, v11, v22
	v_add_f16_e32 v12, v12, v15
	ds_write_b32 v28, v10
	v_pack_b32_f16 v10, v23, v14
	v_pack_b32_f16 v4, v4, v6
	ds_write2_b32 v35, v10, v4 offset0:24 offset1:48
	v_pack_b32_f16 v4, v12, v21
	ds_write_b32 v28, v4 offset:36
	v_pack_b32_f16 v4, v34, v13
	v_pack_b32_f16 v5, v5, v7
	ds_write2_b32 v20, v4, v5 offset0:24 offset1:48
	s_and_saveexec_b64 s[0:1], vcc
	s_cbranch_execz .LBB0_17
; %bb.16:
	v_mul_f16_sdwa v4, v8, v18 dst_sel:DWORD dst_unused:UNUSED_PAD src0_sel:WORD_1 src1_sel:DWORD
	v_mul_f16_sdwa v5, v9, v19 dst_sel:DWORD dst_unused:UNUSED_PAD src0_sel:WORD_1 src1_sel:DWORD
	v_fma_f16 v4, v8, v2, v4
	v_fma_f16 v5, v9, v3, v5
	v_mul_f16_sdwa v2, v8, v2 dst_sel:DWORD dst_unused:UNUSED_PAD src0_sel:WORD_1 src1_sel:DWORD
	v_mul_f16_sdwa v3, v9, v3 dst_sel:DWORD dst_unused:UNUSED_PAD src0_sel:WORD_1 src1_sel:DWORD
	v_fma_f16 v2, v8, v18, -v2
	v_fma_f16 v3, v9, v19, -v3
	v_add_f16_e32 v7, v3, v2
	v_sub_f16_e32 v10, v2, v3
	v_add_f16_e32 v2, v2, v17
	v_add_f16_e32 v9, v5, v4
	;; [unrolled: 1-line block ×4, first 2 shown]
	v_sub_f16_e32 v6, v4, v5
	v_fma_f16 v7, v7, -0.5, v17
	v_fma_f16 v9, v9, -0.5, v16
	v_add_f16_e32 v3, v5, v3
	v_fma_f16 v8, v6, s5, v7
	v_fma_f16 v11, v10, s4, v9
	;; [unrolled: 1-line block ×4, first 2 shown]
	v_pack_b32_f16 v2, v3, v2
	ds_write_b32 v35, v2 offset:72
	v_pack_b32_f16 v2, v11, v8
	v_pack_b32_f16 v3, v5, v4
	ds_write2_b32 v35, v2, v3 offset0:42 offset1:66
.LBB0_17:
	s_or_b64 exec, exec, s[0:1]
	s_waitcnt lgkmcnt(0)
	; wave barrier
	s_waitcnt lgkmcnt(0)
	ds_read2_b32 v[2:3], v28 offset1:9
	s_mov_b32 s4, 0x1c71c71c
	s_mov_b32 s5, 0x3f8c71c7
	v_mad_u64_u32 v[6:7], s[0:1], s10, v1, 0
	s_waitcnt lgkmcnt(0)
	v_lshrrev_b32_e32 v9, 16, v2
	v_mul_f16_sdwa v4, v32, v9 dst_sel:DWORD dst_unused:UNUSED_PAD src0_sel:WORD_1 src1_sel:DWORD
	v_fma_f16 v4, v32, v2, v4
	v_cvt_f32_f16_e32 v4, v4
	s_movk_i32 s6, 0x1ff
	v_mad_u64_u32 v[7:8], s[0:1], s11, v1, v[7:8]
	v_cvt_f64_f32_e32 v[4:5], v4
	s_movk_i32 s7, 0xffe
	v_mul_f16_sdwa v2, v32, v2 dst_sel:DWORD dst_unused:UNUSED_PAD src0_sel:WORD_1 src1_sel:DWORD
	v_fma_f16 v2, v32, v9, -v2
	v_mul_f64 v[4:5], v[4:5], s[4:5]
	s_movk_i32 s10, 0x40f
	s_mov_b32 s11, 0x8000
	v_lshlrev_b64 v[6:7], 2, v[6:7]
	v_mov_b32_e32 v12, s3
	s_mul_i32 s3, s8, 36
	v_and_or_b32 v1, v5, s6, v4
	v_cmp_ne_u32_e32 vcc, 0, v1
	v_lshrrev_b32_e32 v4, 8, v5
	v_bfe_u32 v8, v5, 20, 11
	v_cndmask_b32_e64 v1, 0, 1, vcc
	v_sub_u32_e32 v10, 0x3f1, v8
	v_and_or_b32 v1, v4, s7, v1
	v_med3_i32 v4, v10, 0, 13
	v_or_b32_e32 v10, 0x1000, v1
	v_lshrrev_b32_e32 v11, v4, v10
	v_lshlrev_b32_e32 v4, v4, v11
	v_cmp_ne_u32_e32 vcc, v4, v10
	v_cndmask_b32_e64 v4, 0, 1, vcc
	v_add_u32_e32 v10, 0xfffffc10, v8
	v_or_b32_e32 v4, v11, v4
	v_lshl_or_b32 v8, v10, 12, v1
	v_cmp_gt_i32_e32 vcc, 1, v10
	v_cndmask_b32_e32 v4, v8, v4, vcc
	v_and_b32_e32 v8, 7, v4
	v_cmp_lt_i32_e32 vcc, 5, v8
	v_cmp_eq_u32_e64 s[0:1], 3, v8
	v_cvt_f32_f16_e32 v8, v2
	v_lshrrev_b32_e32 v4, 2, v4
	s_or_b64 vcc, s[0:1], vcc
	v_addc_co_u32_e32 v4, vcc, 0, v4, vcc
	v_cvt_f64_f32_e32 v[8:9], v8
	v_mov_b32_e32 v2, 0x7c00
	v_cmp_gt_i32_e32 vcc, 31, v10
	v_cndmask_b32_e32 v4, v2, v4, vcc
	v_mul_f64 v[8:9], v[8:9], s[4:5]
	v_cmp_ne_u32_e32 vcc, 0, v1
	v_cndmask_b32_e64 v1, 0, 1, vcc
	v_lshl_or_b32 v1, v1, 9, v2
	v_cmp_eq_u32_e32 vcc, s10, v10
	v_cndmask_b32_e32 v1, v4, v1, vcc
	v_lshrrev_b32_e32 v4, 16, v5
	v_and_or_b32 v10, v4, s11, v1
	v_and_or_b32 v1, v9, s6, v8
	v_cmp_ne_u32_e32 vcc, 0, v1
	v_cndmask_b32_e64 v1, 0, 1, vcc
	v_lshrrev_b32_e32 v4, 8, v9
	v_bfe_u32 v5, v9, 20, 11
	v_and_or_b32 v1, v4, s7, v1
	v_sub_u32_e32 v8, 0x3f1, v5
	v_or_b32_e32 v4, 0x1000, v1
	v_med3_i32 v8, v8, 0, 13
	v_lshrrev_b32_e32 v11, v8, v4
	v_lshlrev_b32_e32 v8, v8, v11
	v_cmp_ne_u32_e32 vcc, v8, v4
	v_cndmask_b32_e64 v4, 0, 1, vcc
	v_add_u32_e32 v8, 0xfffffc10, v5
	v_or_b32_e32 v4, v11, v4
	v_lshl_or_b32 v5, v8, 12, v1
	v_cmp_gt_i32_e32 vcc, 1, v8
	v_cndmask_b32_e32 v4, v5, v4, vcc
	v_and_b32_e32 v5, 7, v4
	v_cmp_lt_i32_e32 vcc, 5, v5
	v_cmp_eq_u32_e64 s[0:1], 3, v5
	v_lshrrev_b32_e32 v4, 2, v4
	s_or_b64 vcc, s[0:1], vcc
	v_addc_co_u32_e32 v4, vcc, 0, v4, vcc
	v_cmp_gt_i32_e32 vcc, 31, v8
	v_cndmask_b32_e32 v11, v2, v4, vcc
	v_mad_u64_u32 v[4:5], s[0:1], s8, v0, 0
	v_cmp_ne_u32_e32 vcc, 0, v1
	v_cndmask_b32_e64 v1, 0, 1, vcc
	v_lshl_or_b32 v1, v1, 9, v2
	v_cmp_eq_u32_e32 vcc, s10, v8
	v_cndmask_b32_e32 v8, v11, v1, vcc
	v_mov_b32_e32 v1, v5
	v_mad_u64_u32 v[0:1], s[0:1], s9, v0, v[1:2]
	v_lshrrev_b32_e32 v11, 16, v3
	v_mul_f16_sdwa v1, v31, v11 dst_sel:DWORD dst_unused:UNUSED_PAD src0_sel:WORD_1 src1_sel:DWORD
	v_fma_f16 v1, v31, v3, v1
	v_cvt_f32_f16_e32 v1, v1
	v_mov_b32_e32 v5, v0
	v_lshrrev_b32_e32 v9, 16, v9
	v_and_or_b32 v8, v9, s11, v8
	v_cvt_f64_f32_e32 v[0:1], v1
	v_and_b32_e32 v9, 0xffff, v10
	v_lshl_or_b32 v10, v8, 16, v9
	v_add_co_u32_e32 v6, vcc, s2, v6
	v_mul_f64 v[8:9], v[0:1], s[4:5]
	v_lshlrev_b64 v[0:1], 2, v[4:5]
	v_addc_co_u32_e32 v7, vcc, v12, v7, vcc
	v_add_co_u32_e32 v0, vcc, v6, v0
	v_addc_co_u32_e32 v1, vcc, v7, v1, vcc
	v_and_or_b32 v4, v9, s6, v8
	v_cmp_ne_u32_e32 vcc, 0, v4
	v_cndmask_b32_e64 v4, 0, 1, vcc
	v_lshrrev_b32_e32 v5, 8, v9
	v_bfe_u32 v6, v9, 20, 11
	v_and_or_b32 v5, v5, s7, v4
	v_sub_u32_e32 v7, 0x3f1, v6
	v_or_b32_e32 v4, 0x1000, v5
	v_med3_i32 v7, v7, 0, 13
	v_lshrrev_b32_e32 v8, v7, v4
	v_lshlrev_b32_e32 v7, v7, v8
	v_mul_f16_sdwa v3, v31, v3 dst_sel:DWORD dst_unused:UNUSED_PAD src0_sel:WORD_1 src1_sel:DWORD
	v_cmp_ne_u32_e32 vcc, v7, v4
	v_fma_f16 v3, v31, v11, -v3
	v_cndmask_b32_e64 v4, 0, 1, vcc
	v_add_u32_e32 v6, 0xfffffc10, v6
	v_cvt_f32_f16_e32 v3, v3
	v_or_b32_e32 v4, v8, v4
	v_lshl_or_b32 v7, v6, 12, v5
	v_cmp_gt_i32_e32 vcc, 1, v6
	v_cndmask_b32_e32 v4, v7, v4, vcc
	v_and_b32_e32 v7, 7, v4
	v_cmp_lt_i32_e32 vcc, 5, v7
	v_cmp_eq_u32_e64 s[0:1], 3, v7
	v_lshrrev_b32_e32 v7, 2, v4
	v_cvt_f64_f32_e32 v[3:4], v3
	s_or_b64 vcc, s[0:1], vcc
	v_addc_co_u32_e32 v7, vcc, 0, v7, vcc
	v_mul_f64 v[3:4], v[3:4], s[4:5]
	v_cmp_gt_i32_e32 vcc, 31, v6
	v_cndmask_b32_e32 v7, v2, v7, vcc
	v_cmp_ne_u32_e32 vcc, 0, v5
	v_cndmask_b32_e64 v5, 0, 1, vcc
	v_lshl_or_b32 v5, v5, 9, v2
	v_cmp_eq_u32_e32 vcc, s10, v6
	v_cndmask_b32_e32 v5, v7, v5, vcc
	v_and_or_b32 v3, v4, s6, v3
	v_lshrrev_b32_e32 v6, 16, v9
	v_cmp_ne_u32_e32 vcc, 0, v3
	v_and_or_b32 v5, v6, s11, v5
	v_cndmask_b32_e64 v3, 0, 1, vcc
	v_lshrrev_b32_e32 v6, 8, v4
	v_bfe_u32 v7, v4, 20, 11
	v_and_or_b32 v3, v6, s7, v3
	v_sub_u32_e32 v8, 0x3f1, v7
	v_or_b32_e32 v6, 0x1000, v3
	v_med3_i32 v8, v8, 0, 13
	v_lshrrev_b32_e32 v9, v8, v6
	v_lshlrev_b32_e32 v8, v8, v9
	v_cmp_ne_u32_e32 vcc, v8, v6
	v_cndmask_b32_e64 v6, 0, 1, vcc
	v_add_u32_e32 v7, 0xfffffc10, v7
	v_or_b32_e32 v6, v9, v6
	v_lshl_or_b32 v8, v7, 12, v3
	v_cmp_gt_i32_e32 vcc, 1, v7
	v_cndmask_b32_e32 v6, v8, v6, vcc
	v_and_b32_e32 v8, 7, v6
	v_cmp_lt_i32_e32 vcc, 5, v8
	v_cmp_eq_u32_e64 s[0:1], 3, v8
	v_lshrrev_b32_e32 v6, 2, v6
	s_or_b64 vcc, s[0:1], vcc
	v_addc_co_u32_e32 v6, vcc, 0, v6, vcc
	ds_read_b32 v8, v35 offset:72
	ds_read_b32 v9, v28 offset:252
	v_cmp_gt_i32_e32 vcc, 31, v7
	v_cndmask_b32_e32 v6, v2, v6, vcc
	v_cmp_ne_u32_e32 vcc, 0, v3
	v_cndmask_b32_e64 v3, 0, 1, vcc
	v_lshl_or_b32 v3, v3, 9, v2
	v_cmp_eq_u32_e32 vcc, s10, v7
	v_cndmask_b32_e32 v3, v6, v3, vcc
	s_waitcnt lgkmcnt(1)
	v_lshrrev_b32_e32 v6, 16, v8
	v_mul_f16_sdwa v7, v30, v6 dst_sel:DWORD dst_unused:UNUSED_PAD src0_sel:WORD_1 src1_sel:DWORD
	v_fma_f16 v7, v30, v8, v7
	v_cvt_f32_f16_e32 v7, v7
	v_lshrrev_b32_e32 v4, 16, v4
	v_and_or_b32 v3, v4, s11, v3
	v_and_b32_e32 v4, 0xffff, v5
	v_lshl_or_b32 v5, v3, 16, v4
	v_cvt_f64_f32_e32 v[3:4], v7
	s_mul_i32 s0, s9, 36
	s_mul_hi_u32 s2, s8, 36
	s_add_i32 s2, s2, s0
	v_mul_f64 v[3:4], v[3:4], s[4:5]
	global_store_dword v[0:1], v10, off
	v_mov_b32_e32 v7, s2
	v_add_co_u32_e32 v0, vcc, s3, v0
	v_addc_co_u32_e32 v1, vcc, v1, v7, vcc
	global_store_dword v[0:1], v5, off
	v_and_or_b32 v3, v4, s6, v3
	v_cmp_ne_u32_e32 vcc, 0, v3
	v_cndmask_b32_e64 v3, 0, 1, vcc
	v_lshrrev_b32_e32 v5, 8, v4
	v_bfe_u32 v7, v4, 20, 11
	v_and_or_b32 v3, v5, s7, v3
	v_sub_u32_e32 v10, 0x3f1, v7
	v_or_b32_e32 v5, 0x1000, v3
	v_med3_i32 v10, v10, 0, 13
	v_lshrrev_b32_e32 v11, v10, v5
	v_mul_f16_sdwa v8, v30, v8 dst_sel:DWORD dst_unused:UNUSED_PAD src0_sel:WORD_1 src1_sel:DWORD
	v_lshlrev_b32_e32 v10, v10, v11
	v_fma_f16 v6, v30, v6, -v8
	v_cmp_ne_u32_e32 vcc, v10, v5
	v_cvt_f32_f16_e32 v6, v6
	v_cndmask_b32_e64 v5, 0, 1, vcc
	v_add_u32_e32 v7, 0xfffffc10, v7
	v_or_b32_e32 v5, v11, v5
	v_lshl_or_b32 v10, v7, 12, v3
	v_cmp_gt_i32_e32 vcc, 1, v7
	v_cndmask_b32_e32 v5, v10, v5, vcc
	v_and_b32_e32 v10, 7, v5
	v_lshrrev_b32_e32 v8, 2, v5
	v_cvt_f64_f32_e32 v[5:6], v6
	v_cmp_lt_i32_e32 vcc, 5, v10
	v_cmp_eq_u32_e64 s[0:1], 3, v10
	s_or_b64 vcc, s[0:1], vcc
	v_mul_f64 v[5:6], v[5:6], s[4:5]
	v_addc_co_u32_e32 v8, vcc, 0, v8, vcc
	v_cmp_gt_i32_e32 vcc, 31, v7
	v_cndmask_b32_e32 v8, v2, v8, vcc
	v_cmp_ne_u32_e32 vcc, 0, v3
	v_cndmask_b32_e64 v3, 0, 1, vcc
	v_lshl_or_b32 v3, v3, 9, v2
	v_cmp_eq_u32_e32 vcc, s10, v7
	v_cndmask_b32_e32 v3, v8, v3, vcc
	v_lshrrev_b32_e32 v4, 16, v4
	v_and_or_b32 v10, v4, s11, v3
	v_and_or_b32 v3, v6, s6, v5
	v_cmp_ne_u32_e32 vcc, 0, v3
	v_cndmask_b32_e64 v3, 0, 1, vcc
	v_lshrrev_b32_e32 v4, 8, v6
	v_and_or_b32 v5, v4, s7, v3
	v_bfe_u32 v4, v6, 20, 11
	v_sub_u32_e32 v7, 0x3f1, v4
	v_or_b32_e32 v3, 0x1000, v5
	v_med3_i32 v7, v7, 0, 13
	v_lshrrev_b32_e32 v8, v7, v3
	v_lshlrev_b32_e32 v7, v7, v8
	v_cmp_ne_u32_e32 vcc, v7, v3
	v_cndmask_b32_e64 v3, 0, 1, vcc
	v_add_u32_e32 v7, 0xfffffc10, v4
	v_or_b32_e32 v3, v8, v3
	v_lshl_or_b32 v4, v7, 12, v5
	v_cmp_gt_i32_e32 vcc, 1, v7
	v_cndmask_b32_e32 v3, v4, v3, vcc
	v_and_b32_e32 v4, 7, v3
	v_cmp_lt_i32_e32 vcc, 5, v4
	v_cmp_eq_u32_e64 s[0:1], 3, v4
	v_lshrrev_b32_e32 v3, 2, v3
	s_or_b64 vcc, s[0:1], vcc
	v_addc_co_u32_e32 v8, vcc, 0, v3, vcc
	ds_read2_b32 v[3:4], v28 offset0:27 offset1:36
	v_cmp_gt_i32_e32 vcc, 31, v7
	v_cndmask_b32_e32 v8, v2, v8, vcc
	v_cmp_ne_u32_e32 vcc, 0, v5
	v_cndmask_b32_e64 v5, 0, 1, vcc
	s_waitcnt lgkmcnt(0)
	v_lshrrev_b32_e32 v11, 16, v3
	v_mul_f16_sdwa v12, v29, v11 dst_sel:DWORD dst_unused:UNUSED_PAD src0_sel:WORD_1 src1_sel:DWORD
	v_fma_f16 v12, v29, v3, v12
	v_cvt_f32_f16_e32 v12, v12
	v_lshl_or_b32 v5, v5, 9, v2
	v_cmp_eq_u32_e32 vcc, s10, v7
	v_cndmask_b32_e32 v5, v8, v5, vcc
	v_cvt_f64_f32_e32 v[7:8], v12
	v_lshrrev_b32_e32 v6, 16, v6
	v_and_or_b32 v12, v6, s11, v5
	v_add_co_u32_e32 v0, vcc, s3, v0
	v_mul_f64 v[5:6], v[7:8], s[4:5]
	v_mov_b32_e32 v8, s2
	v_and_b32_e32 v10, 0xffff, v10
	v_addc_co_u32_e32 v1, vcc, v1, v8, vcc
	v_lshl_or_b32 v7, v12, 16, v10
	global_store_dword v[0:1], v7, off
	v_mul_f16_sdwa v3, v29, v3 dst_sel:DWORD dst_unused:UNUSED_PAD src0_sel:WORD_1 src1_sel:DWORD
	v_and_or_b32 v5, v6, s6, v5
	v_cmp_ne_u32_e32 vcc, 0, v5
	v_cndmask_b32_e64 v5, 0, 1, vcc
	v_lshrrev_b32_e32 v7, 8, v6
	v_bfe_u32 v8, v6, 20, 11
	v_and_or_b32 v5, v7, s7, v5
	v_sub_u32_e32 v10, 0x3f1, v8
	v_or_b32_e32 v7, 0x1000, v5
	v_med3_i32 v10, v10, 0, 13
	v_lshrrev_b32_e32 v12, v10, v7
	v_lshlrev_b32_e32 v10, v10, v12
	v_cmp_ne_u32_e32 vcc, v10, v7
	v_fma_f16 v3, v29, v11, -v3
	v_cndmask_b32_e64 v7, 0, 1, vcc
	v_add_u32_e32 v10, 0xfffffc10, v8
	v_cvt_f32_f16_e32 v3, v3
	v_or_b32_e32 v7, v12, v7
	v_lshl_or_b32 v8, v10, 12, v5
	v_cmp_gt_i32_e32 vcc, 1, v10
	v_cndmask_b32_e32 v7, v8, v7, vcc
	v_and_b32_e32 v8, 7, v7
	v_cmp_lt_i32_e32 vcc, 5, v8
	v_cmp_eq_u32_e64 s[0:1], 3, v8
	v_lshrrev_b32_e32 v11, 2, v7
	v_cvt_f64_f32_e32 v[7:8], v3
	s_or_b64 vcc, s[0:1], vcc
	v_addc_co_u32_e32 v3, vcc, 0, v11, vcc
	v_mul_f64 v[7:8], v[7:8], s[4:5]
	v_cmp_gt_i32_e32 vcc, 31, v10
	v_cndmask_b32_e32 v3, v2, v3, vcc
	v_cmp_ne_u32_e32 vcc, 0, v5
	v_cndmask_b32_e64 v5, 0, 1, vcc
	v_lshl_or_b32 v5, v5, 9, v2
	v_cmp_eq_u32_e32 vcc, s10, v10
	v_cndmask_b32_e32 v3, v3, v5, vcc
	v_lshrrev_b32_e32 v5, 16, v6
	v_and_or_b32 v3, v5, s11, v3
	v_and_or_b32 v5, v8, s6, v7
	v_cmp_ne_u32_e32 vcc, 0, v5
	v_cndmask_b32_e64 v5, 0, 1, vcc
	v_lshrrev_b32_e32 v6, 8, v8
	v_bfe_u32 v7, v8, 20, 11
	v_and_or_b32 v5, v6, s7, v5
	v_sub_u32_e32 v10, 0x3f1, v7
	v_or_b32_e32 v6, 0x1000, v5
	v_med3_i32 v10, v10, 0, 13
	v_lshrrev_b32_e32 v11, v10, v6
	v_lshlrev_b32_e32 v10, v10, v11
	v_cmp_ne_u32_e32 vcc, v10, v6
	v_cndmask_b32_e64 v6, 0, 1, vcc
	v_add_u32_e32 v7, 0xfffffc10, v7
	v_or_b32_e32 v6, v11, v6
	v_lshl_or_b32 v10, v7, 12, v5
	v_cmp_gt_i32_e32 vcc, 1, v7
	v_cndmask_b32_e32 v6, v10, v6, vcc
	v_and_b32_e32 v10, 7, v6
	v_cmp_lt_i32_e32 vcc, 5, v10
	v_cmp_eq_u32_e64 s[0:1], 3, v10
	v_lshrrev_b32_e32 v10, 16, v4
	v_lshrrev_b32_e32 v6, 2, v6
	s_or_b64 vcc, s[0:1], vcc
	v_mul_f16_sdwa v11, v27, v10 dst_sel:DWORD dst_unused:UNUSED_PAD src0_sel:WORD_1 src1_sel:DWORD
	v_addc_co_u32_e32 v6, vcc, 0, v6, vcc
	v_fma_f16 v11, v27, v4, v11
	v_cmp_gt_i32_e32 vcc, 31, v7
	v_cvt_f32_f16_e32 v11, v11
	v_cndmask_b32_e32 v6, v2, v6, vcc
	v_cmp_ne_u32_e32 vcc, 0, v5
	v_cndmask_b32_e64 v5, 0, 1, vcc
	v_lshl_or_b32 v5, v5, 9, v2
	v_cmp_eq_u32_e32 vcc, s10, v7
	v_cndmask_b32_e32 v7, v6, v5, vcc
	v_cvt_f64_f32_e32 v[5:6], v11
	v_lshrrev_b32_e32 v8, 16, v8
	v_and_or_b32 v7, v8, s11, v7
	v_and_b32_e32 v3, 0xffff, v3
	v_mul_f64 v[5:6], v[5:6], s[4:5]
	v_lshl_or_b32 v3, v7, 16, v3
	v_mov_b32_e32 v7, s2
	v_add_co_u32_e32 v0, vcc, s3, v0
	v_addc_co_u32_e32 v1, vcc, v1, v7, vcc
	global_store_dword v[0:1], v3, off
	v_and_or_b32 v3, v6, s6, v5
	v_cmp_ne_u32_e32 vcc, 0, v3
	v_cndmask_b32_e64 v3, 0, 1, vcc
	v_lshrrev_b32_e32 v5, 8, v6
	v_bfe_u32 v7, v6, 20, 11
	v_and_or_b32 v5, v5, s7, v3
	v_sub_u32_e32 v8, 0x3f1, v7
	v_or_b32_e32 v3, 0x1000, v5
	v_med3_i32 v8, v8, 0, 13
	v_lshrrev_b32_e32 v11, v8, v3
	v_lshlrev_b32_e32 v8, v8, v11
	v_mul_f16_sdwa v4, v27, v4 dst_sel:DWORD dst_unused:UNUSED_PAD src0_sel:WORD_1 src1_sel:DWORD
	v_cmp_ne_u32_e32 vcc, v8, v3
	v_fma_f16 v4, v27, v10, -v4
	v_cndmask_b32_e64 v3, 0, 1, vcc
	v_add_u32_e32 v7, 0xfffffc10, v7
	v_cvt_f32_f16_e32 v4, v4
	v_or_b32_e32 v3, v11, v3
	v_lshl_or_b32 v8, v7, 12, v5
	v_cmp_gt_i32_e32 vcc, 1, v7
	v_cndmask_b32_e32 v3, v8, v3, vcc
	v_and_b32_e32 v8, 7, v3
	v_cmp_lt_i32_e32 vcc, 5, v8
	v_cmp_eq_u32_e64 s[0:1], 3, v8
	v_lshrrev_b32_e32 v8, 2, v3
	v_cvt_f64_f32_e32 v[3:4], v4
	s_or_b64 vcc, s[0:1], vcc
	v_addc_co_u32_e32 v8, vcc, 0, v8, vcc
	v_mul_f64 v[3:4], v[3:4], s[4:5]
	v_cmp_gt_i32_e32 vcc, 31, v7
	v_cndmask_b32_e32 v8, v2, v8, vcc
	v_cmp_ne_u32_e32 vcc, 0, v5
	v_cndmask_b32_e64 v5, 0, 1, vcc
	v_lshl_or_b32 v5, v5, 9, v2
	v_cmp_eq_u32_e32 vcc, s10, v7
	v_cndmask_b32_e32 v5, v8, v5, vcc
	v_and_or_b32 v3, v4, s6, v3
	v_lshrrev_b32_e32 v6, 16, v6
	v_cmp_ne_u32_e32 vcc, 0, v3
	v_and_or_b32 v10, v6, s11, v5
	v_cndmask_b32_e64 v3, 0, 1, vcc
	v_lshrrev_b32_e32 v5, 8, v4
	v_bfe_u32 v6, v4, 20, 11
	v_and_or_b32 v3, v5, s7, v3
	v_sub_u32_e32 v7, 0x3f1, v6
	v_or_b32_e32 v5, 0x1000, v3
	v_med3_i32 v7, v7, 0, 13
	v_lshrrev_b32_e32 v8, v7, v5
	v_lshlrev_b32_e32 v7, v7, v8
	v_cmp_ne_u32_e32 vcc, v7, v5
	v_cndmask_b32_e64 v5, 0, 1, vcc
	v_add_u32_e32 v7, 0xfffffc10, v6
	v_or_b32_e32 v5, v8, v5
	v_lshl_or_b32 v6, v7, 12, v3
	v_cmp_gt_i32_e32 vcc, 1, v7
	v_cndmask_b32_e32 v5, v6, v5, vcc
	v_and_b32_e32 v6, 7, v5
	v_cmp_lt_i32_e32 vcc, 5, v6
	v_cmp_eq_u32_e64 s[0:1], 3, v6
	v_lshrrev_b32_e32 v5, 2, v5
	s_or_b64 vcc, s[0:1], vcc
	v_addc_co_u32_e32 v8, vcc, 0, v5, vcc
	ds_read2_b32 v[5:6], v28 offset0:45 offset1:54
	v_cmp_gt_i32_e32 vcc, 31, v7
	v_cndmask_b32_e32 v8, v2, v8, vcc
	v_cmp_ne_u32_e32 vcc, 0, v3
	v_cndmask_b32_e64 v3, 0, 1, vcc
	s_waitcnt lgkmcnt(0)
	v_lshrrev_b32_e32 v11, 16, v5
	v_mul_f16_sdwa v12, v26, v11 dst_sel:DWORD dst_unused:UNUSED_PAD src0_sel:WORD_1 src1_sel:DWORD
	v_fma_f16 v12, v26, v5, v12
	v_cvt_f32_f16_e32 v12, v12
	v_lshl_or_b32 v3, v3, 9, v2
	v_cmp_eq_u32_e32 vcc, s10, v7
	v_cndmask_b32_e32 v3, v8, v3, vcc
	v_cvt_f64_f32_e32 v[7:8], v12
	v_lshrrev_b32_e32 v4, 16, v4
	v_and_or_b32 v12, v4, s11, v3
	v_add_co_u32_e32 v0, vcc, s3, v0
	v_mul_f64 v[3:4], v[7:8], s[4:5]
	v_mov_b32_e32 v8, s2
	v_and_b32_e32 v10, 0xffff, v10
	v_addc_co_u32_e32 v1, vcc, v1, v8, vcc
	v_lshl_or_b32 v7, v12, 16, v10
	global_store_dword v[0:1], v7, off
	v_mul_f16_sdwa v5, v26, v5 dst_sel:DWORD dst_unused:UNUSED_PAD src0_sel:WORD_1 src1_sel:DWORD
	v_and_or_b32 v3, v4, s6, v3
	v_cmp_ne_u32_e32 vcc, 0, v3
	v_cndmask_b32_e64 v3, 0, 1, vcc
	v_lshrrev_b32_e32 v7, 8, v4
	v_bfe_u32 v8, v4, 20, 11
	v_and_or_b32 v3, v7, s7, v3
	v_sub_u32_e32 v10, 0x3f1, v8
	v_or_b32_e32 v7, 0x1000, v3
	v_med3_i32 v10, v10, 0, 13
	v_lshrrev_b32_e32 v12, v10, v7
	v_lshlrev_b32_e32 v10, v10, v12
	v_cmp_ne_u32_e32 vcc, v10, v7
	v_fma_f16 v5, v26, v11, -v5
	v_cndmask_b32_e64 v7, 0, 1, vcc
	v_add_u32_e32 v10, 0xfffffc10, v8
	v_cvt_f32_f16_e32 v5, v5
	v_or_b32_e32 v7, v12, v7
	v_lshl_or_b32 v8, v10, 12, v3
	v_cmp_gt_i32_e32 vcc, 1, v10
	v_cndmask_b32_e32 v7, v8, v7, vcc
	v_and_b32_e32 v8, 7, v7
	v_cmp_lt_i32_e32 vcc, 5, v8
	v_cmp_eq_u32_e64 s[0:1], 3, v8
	v_lshrrev_b32_e32 v11, 2, v7
	v_cvt_f64_f32_e32 v[7:8], v5
	s_or_b64 vcc, s[0:1], vcc
	v_addc_co_u32_e32 v5, vcc, 0, v11, vcc
	v_mul_f64 v[7:8], v[7:8], s[4:5]
	v_cmp_gt_i32_e32 vcc, 31, v10
	v_cndmask_b32_e32 v5, v2, v5, vcc
	v_cmp_ne_u32_e32 vcc, 0, v3
	v_cndmask_b32_e64 v3, 0, 1, vcc
	v_lshl_or_b32 v3, v3, 9, v2
	v_cmp_eq_u32_e32 vcc, s10, v10
	v_cndmask_b32_e32 v3, v5, v3, vcc
	v_lshrrev_b32_e32 v4, 16, v4
	v_and_or_b32 v5, v4, s11, v3
	v_and_or_b32 v3, v8, s6, v7
	v_cmp_ne_u32_e32 vcc, 0, v3
	v_cndmask_b32_e64 v3, 0, 1, vcc
	v_lshrrev_b32_e32 v4, 8, v8
	v_bfe_u32 v7, v8, 20, 11
	v_and_or_b32 v3, v4, s7, v3
	v_sub_u32_e32 v10, 0x3f1, v7
	v_or_b32_e32 v4, 0x1000, v3
	v_med3_i32 v10, v10, 0, 13
	v_lshrrev_b32_e32 v11, v10, v4
	v_lshlrev_b32_e32 v10, v10, v11
	v_cmp_ne_u32_e32 vcc, v10, v4
	v_cndmask_b32_e64 v4, 0, 1, vcc
	v_add_u32_e32 v7, 0xfffffc10, v7
	v_or_b32_e32 v4, v11, v4
	v_lshl_or_b32 v10, v7, 12, v3
	v_cmp_gt_i32_e32 vcc, 1, v7
	v_cndmask_b32_e32 v4, v10, v4, vcc
	v_and_b32_e32 v10, 7, v4
	v_cmp_lt_i32_e32 vcc, 5, v10
	v_cmp_eq_u32_e64 s[0:1], 3, v10
	v_lshrrev_b32_e32 v10, 16, v6
	v_lshrrev_b32_e32 v4, 2, v4
	s_or_b64 vcc, s[0:1], vcc
	v_mul_f16_sdwa v11, v25, v10 dst_sel:DWORD dst_unused:UNUSED_PAD src0_sel:WORD_1 src1_sel:DWORD
	v_addc_co_u32_e32 v4, vcc, 0, v4, vcc
	v_fma_f16 v11, v25, v6, v11
	v_cmp_gt_i32_e32 vcc, 31, v7
	v_cvt_f32_f16_e32 v11, v11
	v_cndmask_b32_e32 v4, v2, v4, vcc
	v_cmp_ne_u32_e32 vcc, 0, v3
	v_cndmask_b32_e64 v3, 0, 1, vcc
	v_lshl_or_b32 v3, v3, 9, v2
	v_cmp_eq_u32_e32 vcc, s10, v7
	v_cndmask_b32_e32 v7, v4, v3, vcc
	v_cvt_f64_f32_e32 v[3:4], v11
	v_lshrrev_b32_e32 v8, 16, v8
	v_and_or_b32 v7, v8, s11, v7
	v_and_b32_e32 v5, 0xffff, v5
	v_mul_f64 v[3:4], v[3:4], s[4:5]
	v_lshl_or_b32 v5, v7, 16, v5
	v_mov_b32_e32 v7, s2
	v_add_co_u32_e32 v0, vcc, s3, v0
	v_addc_co_u32_e32 v1, vcc, v1, v7, vcc
	global_store_dword v[0:1], v5, off
	v_and_or_b32 v3, v4, s6, v3
	v_cmp_ne_u32_e32 vcc, 0, v3
	v_cndmask_b32_e64 v3, 0, 1, vcc
	v_lshrrev_b32_e32 v5, 8, v4
	v_bfe_u32 v7, v4, 20, 11
	v_and_or_b32 v3, v5, s7, v3
	v_sub_u32_e32 v8, 0x3f1, v7
	v_or_b32_e32 v5, 0x1000, v3
	v_med3_i32 v8, v8, 0, 13
	v_lshrrev_b32_e32 v11, v8, v5
	v_lshlrev_b32_e32 v8, v8, v11
	v_mul_f16_sdwa v6, v25, v6 dst_sel:DWORD dst_unused:UNUSED_PAD src0_sel:WORD_1 src1_sel:DWORD
	v_cmp_ne_u32_e32 vcc, v8, v5
	v_fma_f16 v6, v25, v10, -v6
	v_cndmask_b32_e64 v5, 0, 1, vcc
	v_add_u32_e32 v7, 0xfffffc10, v7
	v_cvt_f32_f16_e32 v6, v6
	v_or_b32_e32 v5, v11, v5
	v_lshl_or_b32 v8, v7, 12, v3
	v_cmp_gt_i32_e32 vcc, 1, v7
	v_cndmask_b32_e32 v5, v8, v5, vcc
	v_and_b32_e32 v8, 7, v5
	v_cmp_lt_i32_e32 vcc, 5, v8
	v_cmp_eq_u32_e64 s[0:1], 3, v8
	v_lshrrev_b32_e32 v8, 2, v5
	v_cvt_f64_f32_e32 v[5:6], v6
	s_or_b64 vcc, s[0:1], vcc
	v_addc_co_u32_e32 v8, vcc, 0, v8, vcc
	v_mul_f64 v[5:6], v[5:6], s[4:5]
	v_cmp_gt_i32_e32 vcc, 31, v7
	v_cndmask_b32_e32 v8, v2, v8, vcc
	v_cmp_ne_u32_e32 vcc, 0, v3
	v_cndmask_b32_e64 v3, 0, 1, vcc
	v_lshl_or_b32 v3, v3, 9, v2
	v_cmp_eq_u32_e32 vcc, s10, v7
	v_cndmask_b32_e32 v3, v8, v3, vcc
	v_lshrrev_b32_e32 v4, 16, v4
	v_and_or_b32 v7, v4, s11, v3
	v_and_or_b32 v3, v6, s6, v5
	v_cmp_ne_u32_e32 vcc, 0, v3
	v_cndmask_b32_e64 v3, 0, 1, vcc
	v_lshrrev_b32_e32 v4, 8, v6
	v_bfe_u32 v5, v6, 20, 11
	v_and_or_b32 v3, v4, s7, v3
	v_sub_u32_e32 v8, 0x3f1, v5
	v_or_b32_e32 v4, 0x1000, v3
	v_med3_i32 v8, v8, 0, 13
	v_lshrrev_b32_e32 v10, v8, v4
	v_lshlrev_b32_e32 v8, v8, v10
	v_cmp_ne_u32_e32 vcc, v8, v4
	v_cndmask_b32_e64 v4, 0, 1, vcc
	v_add_u32_e32 v5, 0xfffffc10, v5
	v_or_b32_e32 v4, v10, v4
	v_lshl_or_b32 v8, v5, 12, v3
	v_cmp_gt_i32_e32 vcc, 1, v5
	v_cndmask_b32_e32 v4, v8, v4, vcc
	v_and_b32_e32 v8, 7, v4
	v_cmp_lt_i32_e32 vcc, 5, v8
	v_cmp_eq_u32_e64 s[0:1], 3, v8
	v_lshrrev_b32_e32 v8, 16, v9
	v_lshrrev_b32_e32 v4, 2, v4
	s_or_b64 vcc, s[0:1], vcc
	v_mul_f16_sdwa v10, v24, v8 dst_sel:DWORD dst_unused:UNUSED_PAD src0_sel:WORD_1 src1_sel:DWORD
	v_addc_co_u32_e32 v4, vcc, 0, v4, vcc
	v_fma_f16 v10, v24, v9, v10
	v_cmp_gt_i32_e32 vcc, 31, v5
	v_cvt_f32_f16_e32 v10, v10
	v_cndmask_b32_e32 v4, v2, v4, vcc
	v_cmp_ne_u32_e32 vcc, 0, v3
	v_cndmask_b32_e64 v3, 0, 1, vcc
	v_lshl_or_b32 v3, v3, 9, v2
	v_cmp_eq_u32_e32 vcc, s10, v5
	v_cndmask_b32_e32 v5, v4, v3, vcc
	v_cvt_f64_f32_e32 v[3:4], v10
	v_lshrrev_b32_e32 v6, 16, v6
	v_and_or_b32 v5, v6, s11, v5
	v_and_b32_e32 v6, 0xffff, v7
	v_mul_f64 v[3:4], v[3:4], s[4:5]
	v_lshl_or_b32 v5, v5, 16, v6
	v_mov_b32_e32 v6, s2
	v_add_co_u32_e32 v0, vcc, s3, v0
	v_addc_co_u32_e32 v1, vcc, v1, v6, vcc
	global_store_dword v[0:1], v5, off
	v_and_or_b32 v3, v4, s6, v3
	v_cmp_ne_u32_e32 vcc, 0, v3
	v_cndmask_b32_e64 v3, 0, 1, vcc
	v_lshrrev_b32_e32 v5, 8, v4
	v_bfe_u32 v6, v4, 20, 11
	v_and_or_b32 v3, v5, s7, v3
	v_sub_u32_e32 v7, 0x3f1, v6
	v_or_b32_e32 v5, 0x1000, v3
	v_med3_i32 v7, v7, 0, 13
	v_lshrrev_b32_e32 v10, v7, v5
	v_lshlrev_b32_e32 v7, v7, v10
	v_mul_f16_sdwa v9, v24, v9 dst_sel:DWORD dst_unused:UNUSED_PAD src0_sel:WORD_1 src1_sel:DWORD
	v_cmp_ne_u32_e32 vcc, v7, v5
	v_fma_f16 v8, v24, v8, -v9
	v_cndmask_b32_e64 v5, 0, 1, vcc
	v_add_u32_e32 v7, 0xfffffc10, v6
	v_cvt_f32_f16_e32 v8, v8
	v_or_b32_e32 v5, v10, v5
	v_lshl_or_b32 v6, v7, 12, v3
	v_cmp_gt_i32_e32 vcc, 1, v7
	v_cndmask_b32_e32 v5, v6, v5, vcc
	v_and_b32_e32 v6, 7, v5
	v_cmp_lt_i32_e32 vcc, 5, v6
	v_cmp_eq_u32_e64 s[0:1], 3, v6
	v_lshrrev_b32_e32 v9, 2, v5
	v_cvt_f64_f32_e32 v[5:6], v8
	s_or_b64 vcc, s[0:1], vcc
	v_addc_co_u32_e32 v8, vcc, 0, v9, vcc
	v_mul_f64 v[5:6], v[5:6], s[4:5]
	v_cmp_gt_i32_e32 vcc, 31, v7
	v_cndmask_b32_e32 v8, v2, v8, vcc
	v_cmp_ne_u32_e32 vcc, 0, v3
	v_cndmask_b32_e64 v3, 0, 1, vcc
	v_lshl_or_b32 v3, v3, 9, v2
	v_cmp_eq_u32_e32 vcc, s10, v7
	v_cndmask_b32_e32 v3, v8, v3, vcc
	v_lshrrev_b32_e32 v4, 16, v4
	v_and_or_b32 v3, v4, s11, v3
	v_and_or_b32 v4, v6, s6, v5
	v_cmp_ne_u32_e32 vcc, 0, v4
	v_cndmask_b32_e64 v4, 0, 1, vcc
	v_lshrrev_b32_e32 v5, 8, v6
	v_bfe_u32 v7, v6, 20, 11
	v_and_or_b32 v4, v5, s7, v4
	v_sub_u32_e32 v8, 0x3f1, v7
	v_or_b32_e32 v5, 0x1000, v4
	v_med3_i32 v8, v8, 0, 13
	v_lshrrev_b32_e32 v9, v8, v5
	v_lshlrev_b32_e32 v8, v8, v9
	v_cmp_ne_u32_e32 vcc, v8, v5
	v_cndmask_b32_e64 v5, 0, 1, vcc
	v_add_u32_e32 v7, 0xfffffc10, v7
	v_or_b32_e32 v5, v9, v5
	v_lshl_or_b32 v8, v7, 12, v4
	v_cmp_gt_i32_e32 vcc, 1, v7
	v_cndmask_b32_e32 v5, v8, v5, vcc
	v_and_b32_e32 v8, 7, v5
	v_cmp_lt_i32_e32 vcc, 5, v8
	v_cmp_eq_u32_e64 s[0:1], 3, v8
	v_lshrrev_b32_e32 v5, 2, v5
	s_or_b64 vcc, s[0:1], vcc
	v_addc_co_u32_e32 v5, vcc, 0, v5, vcc
	v_cmp_gt_i32_e32 vcc, 31, v7
	v_cndmask_b32_e32 v5, v2, v5, vcc
	v_cmp_ne_u32_e32 vcc, 0, v4
	v_cndmask_b32_e64 v4, 0, 1, vcc
	v_lshl_or_b32 v2, v4, 9, v2
	v_cmp_eq_u32_e32 vcc, s10, v7
	v_cndmask_b32_e32 v2, v5, v2, vcc
	v_lshrrev_b32_e32 v4, 16, v6
	v_and_or_b32 v2, v4, s11, v2
	v_and_b32_e32 v3, 0xffff, v3
	v_lshl_or_b32 v2, v2, 16, v3
	v_mov_b32_e32 v3, s2
	v_add_co_u32_e32 v0, vcc, s3, v0
	v_addc_co_u32_e32 v1, vcc, v1, v3, vcc
	global_store_dword v[0:1], v2, off
.LBB0_18:
	s_endpgm
	.section	.rodata,"a",@progbits
	.p2align	6, 0x0
	.amdhsa_kernel bluestein_single_fwd_len72_dim1_half_op_CI_CI
		.amdhsa_group_segment_fixed_size 2016
		.amdhsa_private_segment_fixed_size 0
		.amdhsa_kernarg_size 104
		.amdhsa_user_sgpr_count 6
		.amdhsa_user_sgpr_private_segment_buffer 1
		.amdhsa_user_sgpr_dispatch_ptr 0
		.amdhsa_user_sgpr_queue_ptr 0
		.amdhsa_user_sgpr_kernarg_segment_ptr 1
		.amdhsa_user_sgpr_dispatch_id 0
		.amdhsa_user_sgpr_flat_scratch_init 0
		.amdhsa_user_sgpr_private_segment_size 0
		.amdhsa_uses_dynamic_stack 0
		.amdhsa_system_sgpr_private_segment_wavefront_offset 0
		.amdhsa_system_sgpr_workgroup_id_x 1
		.amdhsa_system_sgpr_workgroup_id_y 0
		.amdhsa_system_sgpr_workgroup_id_z 0
		.amdhsa_system_sgpr_workgroup_info 0
		.amdhsa_system_vgpr_workitem_id 0
		.amdhsa_next_free_vgpr 59
		.amdhsa_next_free_sgpr 20
		.amdhsa_reserve_vcc 1
		.amdhsa_reserve_flat_scratch 0
		.amdhsa_float_round_mode_32 0
		.amdhsa_float_round_mode_16_64 0
		.amdhsa_float_denorm_mode_32 3
		.amdhsa_float_denorm_mode_16_64 3
		.amdhsa_dx10_clamp 1
		.amdhsa_ieee_mode 1
		.amdhsa_fp16_overflow 0
		.amdhsa_exception_fp_ieee_invalid_op 0
		.amdhsa_exception_fp_denorm_src 0
		.amdhsa_exception_fp_ieee_div_zero 0
		.amdhsa_exception_fp_ieee_overflow 0
		.amdhsa_exception_fp_ieee_underflow 0
		.amdhsa_exception_fp_ieee_inexact 0
		.amdhsa_exception_int_div_zero 0
	.end_amdhsa_kernel
	.text
.Lfunc_end0:
	.size	bluestein_single_fwd_len72_dim1_half_op_CI_CI, .Lfunc_end0-bluestein_single_fwd_len72_dim1_half_op_CI_CI
                                        ; -- End function
	.section	.AMDGPU.csdata,"",@progbits
; Kernel info:
; codeLenInByte = 9488
; NumSgprs: 24
; NumVgprs: 59
; ScratchSize: 0
; MemoryBound: 0
; FloatMode: 240
; IeeeMode: 1
; LDSByteSize: 2016 bytes/workgroup (compile time only)
; SGPRBlocks: 2
; VGPRBlocks: 14
; NumSGPRsForWavesPerEU: 24
; NumVGPRsForWavesPerEU: 59
; Occupancy: 4
; WaveLimiterHint : 1
; COMPUTE_PGM_RSRC2:SCRATCH_EN: 0
; COMPUTE_PGM_RSRC2:USER_SGPR: 6
; COMPUTE_PGM_RSRC2:TRAP_HANDLER: 0
; COMPUTE_PGM_RSRC2:TGID_X_EN: 1
; COMPUTE_PGM_RSRC2:TGID_Y_EN: 0
; COMPUTE_PGM_RSRC2:TGID_Z_EN: 0
; COMPUTE_PGM_RSRC2:TIDIG_COMP_CNT: 0
	.type	__hip_cuid_4bf057988e7d5e4b,@object ; @__hip_cuid_4bf057988e7d5e4b
	.section	.bss,"aw",@nobits
	.globl	__hip_cuid_4bf057988e7d5e4b
__hip_cuid_4bf057988e7d5e4b:
	.byte	0                               ; 0x0
	.size	__hip_cuid_4bf057988e7d5e4b, 1

	.ident	"AMD clang version 19.0.0git (https://github.com/RadeonOpenCompute/llvm-project roc-6.4.0 25133 c7fe45cf4b819c5991fe208aaa96edf142730f1d)"
	.section	".note.GNU-stack","",@progbits
	.addrsig
	.addrsig_sym __hip_cuid_4bf057988e7d5e4b
	.amdgpu_metadata
---
amdhsa.kernels:
  - .args:
      - .actual_access:  read_only
        .address_space:  global
        .offset:         0
        .size:           8
        .value_kind:     global_buffer
      - .actual_access:  read_only
        .address_space:  global
        .offset:         8
        .size:           8
        .value_kind:     global_buffer
      - .actual_access:  read_only
        .address_space:  global
        .offset:         16
        .size:           8
        .value_kind:     global_buffer
      - .actual_access:  read_only
        .address_space:  global
        .offset:         24
        .size:           8
        .value_kind:     global_buffer
      - .actual_access:  read_only
        .address_space:  global
        .offset:         32
        .size:           8
        .value_kind:     global_buffer
      - .offset:         40
        .size:           8
        .value_kind:     by_value
      - .address_space:  global
        .offset:         48
        .size:           8
        .value_kind:     global_buffer
      - .address_space:  global
        .offset:         56
        .size:           8
        .value_kind:     global_buffer
      - .address_space:  global
        .offset:         64
        .size:           8
        .value_kind:     global_buffer
      - .address_space:  global
        .offset:         72
        .size:           8
        .value_kind:     global_buffer
      - .offset:         80
        .size:           4
        .value_kind:     by_value
      - .address_space:  global
        .offset:         88
        .size:           8
        .value_kind:     global_buffer
      - .address_space:  global
        .offset:         96
        .size:           8
        .value_kind:     global_buffer
    .group_segment_fixed_size: 2016
    .kernarg_segment_align: 8
    .kernarg_segment_size: 104
    .language:       OpenCL C
    .language_version:
      - 2
      - 0
    .max_flat_workgroup_size: 63
    .name:           bluestein_single_fwd_len72_dim1_half_op_CI_CI
    .private_segment_fixed_size: 0
    .sgpr_count:     24
    .sgpr_spill_count: 0
    .symbol:         bluestein_single_fwd_len72_dim1_half_op_CI_CI.kd
    .uniform_work_group_size: 1
    .uses_dynamic_stack: false
    .vgpr_count:     59
    .vgpr_spill_count: 0
    .wavefront_size: 64
amdhsa.target:   amdgcn-amd-amdhsa--gfx906
amdhsa.version:
  - 1
  - 2
...

	.end_amdgpu_metadata
